;; amdgpu-corpus repo=pytorch/pytorch kind=compiled arch=gfx90a opt=O3
	.text
	.amdgcn_target "amdgcn-amd-amdhsa--gfx90a"
	.amdhsa_code_object_version 6
	.section	.text._ZN2at6native12_GLOBAL__N_119adaptiveaveragepoolIddEEvPKT_PS3_iiiiiilllllll,"axG",@progbits,_ZN2at6native12_GLOBAL__N_119adaptiveaveragepoolIddEEvPKT_PS3_iiiiiilllllll,comdat
	.globl	_ZN2at6native12_GLOBAL__N_119adaptiveaveragepoolIddEEvPKT_PS3_iiiiiilllllll ; -- Begin function _ZN2at6native12_GLOBAL__N_119adaptiveaveragepoolIddEEvPKT_PS3_iiiiiilllllll
	.p2align	8
	.type	_ZN2at6native12_GLOBAL__N_119adaptiveaveragepoolIddEEvPKT_PS3_iiiiiilllllll,@function
_ZN2at6native12_GLOBAL__N_119adaptiveaveragepoolIddEEvPKT_PS3_iiiiiilllllll: ; @_ZN2at6native12_GLOBAL__N_119adaptiveaveragepoolIddEEvPKT_PS3_iiiiiilllllll
; %bb.0:
	s_load_dwordx2 s[0:1], s[4:5], 0x58
	s_load_dwordx4 s[16:19], s[4:5], 0x10
	s_load_dwordx2 s[24:25], s[4:5], 0x20
	s_mov_b32 s10, 0
	s_waitcnt lgkmcnt(0)
	s_add_u32 s2, s6, s0
	s_addc_u32 s3, 0, s1
	s_ashr_i32 s9, s19, 31
	s_mov_b32 s8, s19
	s_or_b64 s[0:1], s[2:3], s[8:9]
	s_mov_b32 s11, s1
	s_cmp_lg_u64 s[10:11], 0
	s_cbranch_scc0 .LBB0_54
; %bb.1:
	s_add_u32 s0, s8, s9
	s_mov_b32 s12, s9
	s_mov_b32 s13, s9
	s_addc_u32 s1, s9, s9
	s_xor_b64 s[14:15], s[0:1], s[12:13]
	v_cvt_f32_u32_e32 v1, s14
	v_cvt_f32_u32_e32 v2, s15
	s_sub_u32 s0, 0, s14
	s_subb_u32 s1, 0, s15
	v_madmk_f32 v1, v2, 0x4f800000, v1
	v_rcp_f32_e32 v1, v1
	v_mul_f32_e32 v1, 0x5f7ffffc, v1
	v_mul_f32_e32 v2, 0x2f800000, v1
	v_trunc_f32_e32 v2, v2
	v_madmk_f32 v1, v2, 0xcf800000, v1
	v_cvt_u32_f32_e32 v2, v2
	v_cvt_u32_f32_e32 v1, v1
	v_readfirstlane_b32 s6, v2
	v_readfirstlane_b32 s19, v1
	s_mul_i32 s20, s0, s6
	s_mul_hi_u32 s22, s0, s19
	s_mul_i32 s21, s1, s19
	s_add_i32 s20, s22, s20
	s_add_i32 s20, s20, s21
	s_mul_i32 s23, s0, s19
	s_mul_hi_u32 s21, s19, s20
	s_mul_i32 s22, s19, s20
	s_mul_hi_u32 s19, s19, s23
	s_add_u32 s19, s19, s22
	s_addc_u32 s21, 0, s21
	s_mul_hi_u32 s26, s6, s23
	s_mul_i32 s23, s6, s23
	s_add_u32 s19, s19, s23
	s_mul_hi_u32 s22, s6, s20
	s_addc_u32 s19, s21, s26
	s_addc_u32 s21, s22, 0
	s_mul_i32 s20, s6, s20
	s_add_u32 s19, s19, s20
	s_addc_u32 s20, 0, s21
	v_add_co_u32_e32 v1, vcc, s19, v1
	s_cmp_lg_u64 vcc, 0
	s_addc_u32 s6, s6, s20
	v_readfirstlane_b32 s20, v1
	s_mul_i32 s19, s0, s6
	s_mul_hi_u32 s21, s0, s20
	s_add_i32 s19, s21, s19
	s_mul_i32 s1, s1, s20
	s_add_i32 s19, s19, s1
	s_mul_i32 s0, s0, s20
	s_mul_hi_u32 s21, s6, s0
	s_mul_i32 s22, s6, s0
	s_mul_i32 s26, s20, s19
	s_mul_hi_u32 s0, s20, s0
	s_mul_hi_u32 s23, s20, s19
	s_add_u32 s0, s0, s26
	s_addc_u32 s20, 0, s23
	s_add_u32 s0, s0, s22
	s_mul_hi_u32 s1, s6, s19
	s_addc_u32 s0, s20, s21
	s_addc_u32 s1, s1, 0
	s_mul_i32 s19, s6, s19
	s_add_u32 s0, s0, s19
	s_addc_u32 s1, 0, s1
	v_add_co_u32_e32 v1, vcc, s0, v1
	s_cmp_lg_u64 vcc, 0
	s_addc_u32 s6, s6, s1
	s_ashr_i32 s20, s3, 31
	s_add_u32 s0, s2, s20
	s_mov_b32 s21, s20
	s_addc_u32 s1, s3, s20
	s_xor_b64 s[22:23], s[0:1], s[20:21]
	v_readfirstlane_b32 s19, v1
	s_mul_i32 s1, s22, s6
	s_mul_hi_u32 s26, s22, s19
	s_mul_hi_u32 s0, s22, s6
	s_add_u32 s1, s26, s1
	s_addc_u32 s0, 0, s0
	s_mul_hi_u32 s27, s23, s19
	s_mul_i32 s19, s23, s19
	s_add_u32 s1, s1, s19
	s_mul_hi_u32 s26, s23, s6
	s_addc_u32 s0, s0, s27
	s_addc_u32 s1, s26, 0
	s_mul_i32 s6, s23, s6
	s_add_u32 s6, s0, s6
	s_addc_u32 s19, 0, s1
	s_mul_i32 s0, s14, s19
	s_mul_hi_u32 s1, s14, s6
	s_add_i32 s0, s1, s0
	s_mul_i32 s1, s15, s6
	s_add_i32 s26, s0, s1
	s_mul_i32 s1, s14, s6
	v_mov_b32_e32 v1, s1
	s_sub_i32 s0, s23, s26
	v_sub_co_u32_e32 v1, vcc, s22, v1
	s_cmp_lg_u64 vcc, 0
	s_subb_u32 s22, s0, s15
	v_subrev_co_u32_e64 v2, s[0:1], s14, v1
	s_cmp_lg_u64 s[0:1], 0
	s_subb_u32 s0, s22, 0
	s_cmp_ge_u32 s0, s15
	v_readfirstlane_b32 s22, v2
	s_cselect_b32 s1, -1, 0
	s_cmp_ge_u32 s22, s14
	s_cselect_b32 s22, -1, 0
	s_cmp_eq_u32 s0, s15
	s_cselect_b32 s0, s22, s1
	s_add_u32 s1, s6, 1
	s_addc_u32 s22, s19, 0
	s_add_u32 s27, s6, 2
	s_addc_u32 s28, s19, 0
	s_cmp_lg_u32 s0, 0
	s_cselect_b32 s0, s27, s1
	s_cselect_b32 s1, s28, s22
	s_cmp_lg_u64 vcc, 0
	s_subb_u32 s22, s23, s26
	s_cmp_ge_u32 s22, s15
	v_readfirstlane_b32 s26, v1
	s_cselect_b32 s23, -1, 0
	s_cmp_ge_u32 s26, s14
	s_cselect_b32 s14, -1, 0
	s_cmp_eq_u32 s22, s15
	s_cselect_b32 s14, s14, s23
	s_cmp_lg_u32 s14, 0
	s_cselect_b32 s1, s1, s19
	s_cselect_b32 s0, s0, s6
	s_xor_b64 s[12:13], s[20:21], s[12:13]
	s_xor_b64 s[0:1], s[0:1], s[12:13]
	s_sub_u32 s26, s0, s12
	s_subb_u32 s27, s1, s13
	v_cvt_f32_u32_e32 v1, s8
	s_cbranch_execnz .LBB0_3
.LBB0_2:
	v_rcp_iflag_f32_e32 v2, v1
	s_sub_i32 s0, 0, s8
	s_mov_b32 s27, 0
	v_mul_f32_e32 v2, 0x4f7ffffe, v2
	v_cvt_u32_f32_e32 v2, v2
	v_readfirstlane_b32 s1, v2
	s_mul_i32 s0, s0, s1
	s_mul_hi_u32 s0, s1, s0
	s_add_i32 s1, s1, s0
	s_mul_hi_u32 s0, s2, s1
	s_mul_i32 s6, s0, s8
	s_sub_i32 s6, s2, s6
	s_add_i32 s1, s0, 1
	s_sub_i32 s10, s6, s8
	s_cmp_ge_u32 s6, s8
	s_cselect_b32 s0, s1, s0
	s_cselect_b32 s6, s10, s6
	s_add_i32 s1, s0, 1
	s_cmp_ge_u32 s6, s8
	s_cselect_b32 s26, s1, s0
.LBB0_3:
	s_mul_i32 s0, s26, s9
	s_mul_hi_u32 s1, s26, s8
	s_add_i32 s0, s1, s0
	s_mul_i32 s1, s27, s8
	s_add_i32 s0, s0, s1
	s_mul_i32 s1, s26, s8
	s_sub_u32 s1, s2, s1
	s_subb_u32 s0, s3, s0
	s_ashr_i32 s6, s16, 31
	s_mul_i32 s10, s1, s6
	s_mul_hi_u32 s11, s1, s16
	s_add_i32 s10, s11, s10
	s_mul_i32 s0, s0, s16
	s_add_i32 s11, s10, s0
	s_mul_i32 s10, s1, s16
	s_or_b64 s[0:1], s[10:11], s[8:9]
	s_mov_b32 s0, 0
	s_cmp_lg_u64 s[0:1], 0
	s_cbranch_scc0 .LBB0_55
; %bb.4:
	s_add_u32 s0, s8, s9
	s_mov_b32 s12, s9
	s_mov_b32 s13, s9
	s_addc_u32 s1, s9, s9
	s_xor_b64 s[20:21], s[0:1], s[12:13]
	v_cvt_f32_u32_e32 v2, s20
	v_cvt_f32_u32_e32 v3, s21
	s_sub_u32 s0, 0, s20
	s_subb_u32 s1, 0, s21
	v_madmk_f32 v2, v3, 0x4f800000, v2
	v_rcp_f32_e32 v2, v2
	v_mul_f32_e32 v2, 0x5f7ffffc, v2
	v_mul_f32_e32 v3, 0x2f800000, v2
	v_trunc_f32_e32 v3, v3
	v_madmk_f32 v2, v3, 0xcf800000, v2
	v_cvt_u32_f32_e32 v3, v3
	v_cvt_u32_f32_e32 v2, v2
	v_readfirstlane_b32 s19, v3
	v_readfirstlane_b32 s22, v2
	s_mul_i32 s23, s0, s19
	s_mul_hi_u32 s29, s0, s22
	s_mul_i32 s28, s1, s22
	s_add_i32 s23, s29, s23
	s_add_i32 s23, s23, s28
	s_mul_i32 s30, s0, s22
	s_mul_hi_u32 s28, s22, s23
	s_mul_i32 s29, s22, s23
	s_mul_hi_u32 s22, s22, s30
	s_add_u32 s22, s22, s29
	s_addc_u32 s28, 0, s28
	s_mul_hi_u32 s31, s19, s30
	s_mul_i32 s30, s19, s30
	s_add_u32 s22, s22, s30
	s_mul_hi_u32 s29, s19, s23
	s_addc_u32 s22, s28, s31
	s_addc_u32 s28, s29, 0
	s_mul_i32 s23, s19, s23
	s_add_u32 s22, s22, s23
	s_addc_u32 s23, 0, s28
	v_add_co_u32_e32 v2, vcc, s22, v2
	s_cmp_lg_u64 vcc, 0
	s_addc_u32 s19, s19, s23
	v_readfirstlane_b32 s23, v2
	s_mul_i32 s22, s0, s19
	s_mul_hi_u32 s28, s0, s23
	s_add_i32 s22, s28, s22
	s_mul_i32 s1, s1, s23
	s_add_i32 s22, s22, s1
	s_mul_i32 s0, s0, s23
	s_mul_hi_u32 s28, s19, s0
	s_mul_i32 s29, s19, s0
	s_mul_i32 s31, s23, s22
	s_mul_hi_u32 s0, s23, s0
	s_mul_hi_u32 s30, s23, s22
	s_add_u32 s0, s0, s31
	s_addc_u32 s23, 0, s30
	s_add_u32 s0, s0, s29
	s_mul_hi_u32 s1, s19, s22
	s_addc_u32 s0, s23, s28
	s_addc_u32 s1, s1, 0
	s_mul_i32 s22, s19, s22
	s_add_u32 s0, s0, s22
	s_addc_u32 s1, 0, s1
	v_add_co_u32_e32 v2, vcc, s0, v2
	s_cmp_lg_u64 vcc, 0
	s_addc_u32 s19, s19, s1
	s_ashr_i32 s22, s11, 31
	s_add_u32 s0, s10, s22
	s_mov_b32 s23, s22
	s_addc_u32 s1, s11, s22
	s_xor_b64 s[28:29], s[0:1], s[22:23]
	v_readfirstlane_b32 s30, v2
	s_mul_i32 s1, s28, s19
	s_mul_hi_u32 s31, s28, s30
	s_mul_hi_u32 s0, s28, s19
	s_add_u32 s1, s31, s1
	s_addc_u32 s0, 0, s0
	s_mul_hi_u32 s33, s29, s30
	s_mul_i32 s30, s29, s30
	s_add_u32 s1, s1, s30
	s_mul_hi_u32 s31, s29, s19
	s_addc_u32 s0, s0, s33
	s_addc_u32 s1, s31, 0
	s_mul_i32 s19, s29, s19
	s_add_u32 s19, s0, s19
	s_addc_u32 s0, 0, s1
	s_mul_i32 s0, s20, s0
	s_mul_hi_u32 s1, s20, s19
	s_add_i32 s0, s1, s0
	s_mul_i32 s1, s21, s19
	s_add_i32 s30, s0, s1
	s_mul_i32 s1, s20, s19
	v_mov_b32_e32 v2, s1
	s_sub_i32 s0, s29, s30
	v_sub_co_u32_e32 v2, vcc, s28, v2
	s_cmp_lg_u64 vcc, 0
	s_subb_u32 s28, s0, s21
	v_subrev_co_u32_e64 v3, s[0:1], s20, v2
	s_cmp_lg_u64 s[0:1], 0
	s_subb_u32 s28, s28, 0
	s_cmp_ge_u32 s28, s21
	s_cselect_b32 s31, -1, 0
	v_cmp_le_u32_e64 s[0:1], s20, v3
	s_cmp_eq_u32 s28, s21
	v_cndmask_b32_e64 v3, 0, -1, s[0:1]
	v_mov_b32_e32 v4, s31
	s_cselect_b64 s[0:1], -1, 0
	v_cndmask_b32_e64 v3, v4, v3, s[0:1]
	s_add_u32 s0, s19, 1
	s_add_u32 s1, s19, 2
	v_mov_b32_e32 v4, s0
	v_mov_b32_e32 v5, s1
	v_cmp_ne_u32_e64 s[0:1], 0, v3
	s_cmp_lg_u64 vcc, 0
	v_cndmask_b32_e64 v3, v4, v5, s[0:1]
	s_subb_u32 s0, s29, s30
	s_cmp_ge_u32 s0, s21
	s_cselect_b32 s1, -1, 0
	v_cmp_le_u32_e32 vcc, s20, v2
	s_cmp_eq_u32 s0, s21
	v_cndmask_b32_e64 v2, 0, -1, vcc
	v_mov_b32_e32 v4, s1
	s_cselect_b64 vcc, -1, 0
	v_cndmask_b32_e32 v2, v4, v2, vcc
	v_mov_b32_e32 v4, s19
	v_cmp_ne_u32_e32 vcc, 0, v2
	v_cndmask_b32_e32 v2, v4, v3, vcc
	s_xor_b64 s[0:1], s[22:23], s[12:13]
	v_xor_b32_e32 v2, s0, v2
	v_subrev_co_u32_e32 v2, vcc, s0, v2
	s_cbranch_execnz .LBB0_6
.LBB0_5:
	v_rcp_iflag_f32_e32 v2, v1
	s_sub_i32 s0, 0, s8
	v_mul_f32_e32 v2, 0x4f7ffffe, v2
	v_cvt_u32_f32_e32 v2, v2
	v_mul_lo_u32 v3, s0, v2
	v_mul_hi_u32 v3, v2, v3
	v_add_u32_e32 v2, v2, v3
	v_mul_hi_u32 v2, s10, v2
	v_mul_lo_u32 v4, v2, s8
	v_sub_u32_e32 v4, s10, v4
	v_add_u32_e32 v3, 1, v2
	v_subrev_u32_e32 v5, s8, v4
	v_cmp_le_u32_e32 vcc, s8, v4
	v_cndmask_b32_e32 v4, v4, v5, vcc
	v_cndmask_b32_e32 v2, v2, v3, vcc
	v_add_u32_e32 v3, 1, v2
	v_cmp_le_u32_e32 vcc, s8, v4
	v_cndmask_b32_e32 v2, v2, v3, vcc
.LBB0_6:
	s_add_u32 s0, s10, s16
	s_addc_u32 s1, s11, s6
	s_add_u32 s10, s0, -1
	s_addc_u32 s11, s1, -1
	s_or_b64 s[0:1], s[10:11], s[8:9]
	s_mov_b32 s0, 0
	s_cmp_lg_u64 s[0:1], 0
	s_mov_b64 s[12:13], -1
	s_cbranch_scc0 .LBB0_56
; %bb.7:
	s_add_u32 s0, s8, s9
	s_mov_b32 s14, s9
	s_mov_b32 s15, s9
	s_addc_u32 s1, s9, s9
	s_xor_b64 s[20:21], s[0:1], s[14:15]
	v_cvt_f32_u32_e32 v3, s20
	v_cvt_f32_u32_e32 v4, s21
	s_sub_u32 s0, 0, s20
	s_subb_u32 s1, 0, s21
	v_madmk_f32 v3, v4, 0x4f800000, v3
	v_rcp_f32_e32 v3, v3
	v_mul_f32_e32 v3, 0x5f7ffffc, v3
	v_mul_f32_e32 v4, 0x2f800000, v3
	v_trunc_f32_e32 v4, v4
	v_madmk_f32 v3, v4, 0xcf800000, v3
	v_cvt_u32_f32_e32 v4, v4
	v_cvt_u32_f32_e32 v3, v3
	v_readfirstlane_b32 s6, v4
	v_readfirstlane_b32 s9, v3
	s_mul_i32 s16, s0, s6
	s_mul_hi_u32 s22, s0, s9
	s_mul_i32 s19, s1, s9
	s_add_i32 s16, s22, s16
	s_add_i32 s16, s16, s19
	s_mul_i32 s23, s0, s9
	s_mul_hi_u32 s19, s9, s16
	s_mul_i32 s22, s9, s16
	s_mul_hi_u32 s9, s9, s23
	s_add_u32 s9, s9, s22
	s_addc_u32 s19, 0, s19
	s_mul_hi_u32 s28, s6, s23
	s_mul_i32 s23, s6, s23
	s_add_u32 s9, s9, s23
	s_mul_hi_u32 s22, s6, s16
	s_addc_u32 s9, s19, s28
	s_addc_u32 s19, s22, 0
	s_mul_i32 s16, s6, s16
	s_add_u32 s9, s9, s16
	s_addc_u32 s16, 0, s19
	v_add_co_u32_e32 v3, vcc, s9, v3
	s_cmp_lg_u64 vcc, 0
	s_addc_u32 s6, s6, s16
	v_readfirstlane_b32 s16, v3
	s_mul_i32 s9, s0, s6
	s_mul_hi_u32 s19, s0, s16
	s_add_i32 s9, s19, s9
	s_mul_i32 s1, s1, s16
	s_add_i32 s9, s9, s1
	s_mul_i32 s0, s0, s16
	s_mul_hi_u32 s19, s6, s0
	s_mul_i32 s22, s6, s0
	s_mul_i32 s28, s16, s9
	s_mul_hi_u32 s0, s16, s0
	s_mul_hi_u32 s23, s16, s9
	s_add_u32 s0, s0, s28
	s_addc_u32 s16, 0, s23
	s_add_u32 s0, s0, s22
	s_mul_hi_u32 s1, s6, s9
	s_addc_u32 s0, s16, s19
	s_addc_u32 s1, s1, 0
	s_mul_i32 s9, s6, s9
	s_add_u32 s0, s0, s9
	s_addc_u32 s1, 0, s1
	v_add_co_u32_e32 v3, vcc, s0, v3
	s_cmp_lg_u64 vcc, 0
	s_addc_u32 s6, s6, s1
	s_ashr_i32 s22, s11, 31
	s_add_u32 s0, s10, s22
	s_mov_b32 s23, s22
	s_addc_u32 s1, s11, s22
	s_xor_b64 s[28:29], s[0:1], s[22:23]
	v_readfirstlane_b32 s9, v3
	s_mul_i32 s1, s28, s6
	s_mul_hi_u32 s11, s28, s9
	s_mul_hi_u32 s0, s28, s6
	s_add_u32 s1, s11, s1
	s_addc_u32 s0, 0, s0
	s_mul_hi_u32 s16, s29, s9
	s_mul_i32 s9, s29, s9
	s_add_u32 s1, s1, s9
	s_mul_hi_u32 s11, s29, s6
	s_addc_u32 s0, s0, s16
	s_addc_u32 s1, s11, 0
	s_mul_i32 s6, s29, s6
	s_add_u32 s6, s0, s6
	s_addc_u32 s0, 0, s1
	s_mul_i32 s0, s20, s0
	s_mul_hi_u32 s1, s20, s6
	s_add_i32 s0, s1, s0
	s_mul_i32 s1, s21, s6
	s_add_i32 s9, s0, s1
	s_mul_i32 s1, s20, s6
	v_mov_b32_e32 v3, s1
	s_sub_i32 s0, s29, s9
	v_sub_co_u32_e32 v3, vcc, s28, v3
	s_cmp_lg_u64 vcc, 0
	s_subb_u32 s11, s0, s21
	v_subrev_co_u32_e64 v4, s[0:1], s20, v3
	s_cmp_lg_u64 s[0:1], 0
	s_subb_u32 s11, s11, 0
	s_cmp_ge_u32 s11, s21
	s_cselect_b32 s16, -1, 0
	v_cmp_le_u32_e64 s[0:1], s20, v4
	s_cmp_eq_u32 s11, s21
	v_cndmask_b32_e64 v4, 0, -1, s[0:1]
	v_mov_b32_e32 v5, s16
	s_cselect_b64 s[0:1], -1, 0
	v_cndmask_b32_e64 v4, v5, v4, s[0:1]
	s_add_u32 s0, s6, 1
	s_add_u32 s1, s6, 2
	v_mov_b32_e32 v5, s0
	v_mov_b32_e32 v6, s1
	v_cmp_ne_u32_e64 s[0:1], 0, v4
	s_cmp_lg_u64 vcc, 0
	v_cndmask_b32_e64 v4, v5, v6, s[0:1]
	s_subb_u32 s0, s29, s9
	s_cmp_ge_u32 s0, s21
	s_cselect_b32 s1, -1, 0
	v_cmp_le_u32_e32 vcc, s20, v3
	s_cmp_eq_u32 s0, s21
	v_cndmask_b32_e64 v3, 0, -1, vcc
	v_mov_b32_e32 v5, s1
	s_cselect_b64 vcc, -1, 0
	v_cndmask_b32_e32 v3, v5, v3, vcc
	v_mov_b32_e32 v5, s6
	v_cmp_ne_u32_e32 vcc, 0, v3
	v_cndmask_b32_e32 v3, v5, v4, vcc
	s_xor_b64 s[0:1], s[22:23], s[14:15]
	v_xor_b32_e32 v3, s0, v3
	v_subrev_co_u32_e32 v6, vcc, s0, v3
	s_load_dword s16, s[4:5], 0x6c
	s_cbranch_execnz .LBB0_9
.LBB0_8:
	v_rcp_iflag_f32_e32 v1, v1
	s_sub_i32 s0, 0, s8
	v_mul_f32_e32 v1, 0x4f7ffffe, v1
	v_cvt_u32_f32_e32 v1, v1
	v_mul_lo_u32 v3, s0, v1
	v_mul_hi_u32 v3, v1, v3
	v_add_u32_e32 v1, v1, v3
	v_mul_hi_u32 v1, s10, v1
	v_mul_lo_u32 v4, v1, s8
	v_sub_u32_e32 v4, s10, v4
	v_add_u32_e32 v3, 1, v1
	v_subrev_u32_e32 v5, s8, v4
	v_cmp_le_u32_e32 vcc, s8, v4
	v_cndmask_b32_e32 v4, v4, v5, vcc
	v_cndmask_b32_e32 v1, v1, v3, vcc
	v_add_u32_e32 v3, 1, v1
	v_cmp_le_u32_e32 vcc, s8, v4
	v_cndmask_b32_e32 v6, v1, v3, vcc
.LBB0_9:
	s_waitcnt lgkmcnt(0)
	s_lshr_b32 s38, s16, 16
	s_mul_i32 s7, s7, s38
	v_bfe_u32 v1, v0, 10, 10
	v_add_u32_e32 v4, s7, v1
	v_cmp_gt_i32_e32 vcc, s24, v4
	s_and_saveexec_b64 s[0:1], vcc
	s_cbranch_execz .LBB0_53
; %bb.10:
	s_load_dwordx8 s[8:15], s[4:5], 0x28
	s_load_dwordx4 s[20:23], s[4:5], 0x48
	s_bfe_i64 s[28:29], s[26:27], 0x200000
	s_mov_b32 s0, 0
	s_waitcnt lgkmcnt(0)
	s_or_b64 s[6:7], s[28:29], s[8:9]
	s_mov_b32 s1, s7
	s_cmp_lg_u64 s[0:1], 0
	s_cbranch_scc0 .LBB0_57
; %bb.11:
	s_ashr_i32 s30, s9, 31
	s_add_u32 s0, s8, s30
	s_mov_b32 s31, s30
	s_addc_u32 s1, s9, s30
	s_xor_b64 s[34:35], s[0:1], s[30:31]
	v_cvt_f32_u32_e32 v1, s34
	v_cvt_f32_u32_e32 v3, s35
	s_sub_u32 s0, 0, s34
	s_subb_u32 s1, 0, s35
	v_madmk_f32 v1, v3, 0x4f800000, v1
	v_rcp_f32_e32 v1, v1
	v_mul_f32_e32 v1, 0x5f7ffffc, v1
	v_mul_f32_e32 v3, 0x2f800000, v1
	v_trunc_f32_e32 v3, v3
	v_madmk_f32 v1, v3, 0xcf800000, v1
	v_cvt_u32_f32_e32 v3, v3
	v_cvt_u32_f32_e32 v1, v1
	v_readfirstlane_b32 s19, v3
	v_readfirstlane_b32 s27, v1
	s_mul_i32 s33, s0, s19
	s_mul_hi_u32 s37, s0, s27
	s_mul_i32 s36, s1, s27
	s_add_i32 s33, s37, s33
	s_add_i32 s33, s33, s36
	s_mul_i32 s39, s0, s27
	s_mul_hi_u32 s36, s27, s33
	s_mul_i32 s37, s27, s33
	s_mul_hi_u32 s27, s27, s39
	s_add_u32 s27, s27, s37
	s_addc_u32 s36, 0, s36
	s_mul_hi_u32 s40, s19, s39
	s_mul_i32 s39, s19, s39
	s_add_u32 s27, s27, s39
	s_mul_hi_u32 s37, s19, s33
	s_addc_u32 s27, s36, s40
	s_addc_u32 s36, s37, 0
	s_mul_i32 s33, s19, s33
	s_add_u32 s27, s27, s33
	s_addc_u32 s33, 0, s36
	v_add_co_u32_e32 v1, vcc, s27, v1
	s_cmp_lg_u64 vcc, 0
	s_addc_u32 s19, s19, s33
	v_readfirstlane_b32 s33, v1
	s_mul_i32 s27, s0, s19
	s_mul_hi_u32 s36, s0, s33
	s_add_i32 s27, s36, s27
	s_mul_i32 s1, s1, s33
	s_add_i32 s27, s27, s1
	s_mul_i32 s0, s0, s33
	s_mul_hi_u32 s36, s19, s0
	s_mul_i32 s37, s19, s0
	s_mul_i32 s40, s33, s27
	s_mul_hi_u32 s0, s33, s0
	s_mul_hi_u32 s39, s33, s27
	s_add_u32 s0, s0, s40
	s_addc_u32 s33, 0, s39
	s_add_u32 s0, s0, s37
	s_mul_hi_u32 s1, s19, s27
	s_addc_u32 s0, s33, s36
	s_addc_u32 s1, s1, 0
	s_mul_i32 s27, s19, s27
	s_add_u32 s0, s0, s27
	s_addc_u32 s1, 0, s1
	v_add_co_u32_e32 v1, vcc, s0, v1
	s_cmp_lg_u64 vcc, 0
	s_addc_u32 s19, s19, s1
	s_add_u32 s0, s28, s29
	s_mov_b32 s36, s29
	s_mov_b32 s37, s29
	s_addc_u32 s1, s29, s29
	s_xor_b64 s[40:41], s[0:1], s[36:37]
	v_readfirstlane_b32 s27, v1
	s_mul_i32 s1, s40, s19
	s_mul_hi_u32 s33, s40, s27
	s_mul_hi_u32 s0, s40, s19
	s_add_u32 s1, s33, s1
	s_addc_u32 s0, 0, s0
	s_mul_hi_u32 s39, s41, s27
	s_mul_i32 s27, s41, s27
	s_add_u32 s1, s1, s27
	s_mul_hi_u32 s33, s41, s19
	s_addc_u32 s0, s0, s39
	s_addc_u32 s1, s33, 0
	s_mul_i32 s19, s41, s19
	s_add_u32 s19, s0, s19
	s_addc_u32 s27, 0, s1
	s_mul_i32 s0, s34, s27
	s_mul_hi_u32 s1, s34, s19
	s_add_i32 s0, s1, s0
	s_mul_i32 s1, s35, s19
	s_add_i32 s33, s0, s1
	s_mul_i32 s1, s34, s19
	v_mov_b32_e32 v1, s1
	s_sub_i32 s0, s41, s33
	v_sub_co_u32_e32 v1, vcc, s40, v1
	s_cmp_lg_u64 vcc, 0
	s_subb_u32 s39, s0, s35
	v_subrev_co_u32_e64 v3, s[0:1], s34, v1
	s_cmp_lg_u64 s[0:1], 0
	s_subb_u32 s0, s39, 0
	s_cmp_ge_u32 s0, s35
	v_readfirstlane_b32 s39, v3
	s_cselect_b32 s1, -1, 0
	s_cmp_ge_u32 s39, s34
	s_cselect_b32 s39, -1, 0
	s_cmp_eq_u32 s0, s35
	s_cselect_b32 s0, s39, s1
	s_add_u32 s1, s19, 1
	s_addc_u32 s39, s27, 0
	s_add_u32 s40, s19, 2
	s_addc_u32 s42, s27, 0
	s_cmp_lg_u32 s0, 0
	s_cselect_b32 s0, s40, s1
	s_cselect_b32 s1, s42, s39
	s_cmp_lg_u64 vcc, 0
	s_subb_u32 s33, s41, s33
	s_cmp_ge_u32 s33, s35
	v_readfirstlane_b32 s40, v1
	s_cselect_b32 s39, -1, 0
	s_cmp_ge_u32 s40, s34
	s_cselect_b32 s34, -1, 0
	s_cmp_eq_u32 s33, s35
	s_cselect_b32 s33, s34, s39
	s_cmp_lg_u32 s33, 0
	s_cselect_b32 s1, s1, s27
	s_cselect_b32 s0, s0, s19
	s_xor_b64 s[30:31], s[36:37], s[30:31]
	s_xor_b64 s[0:1], s[0:1], s[30:31]
	s_sub_u32 s30, s0, s30
	s_subb_u32 s31, s1, s31
	s_load_dword s0, s[4:5], 0x64
	s_cbranch_execnz .LBB0_13
.LBB0_12:
	v_cvt_f32_u32_e32 v1, s8
	s_sub_i32 s6, 0, s8
	s_mov_b32 s31, 0
	v_rcp_iflag_f32_e32 v1, v1
	v_mul_f32_e32 v1, 0x4f7ffffe, v1
	v_cvt_u32_f32_e32 v1, v1
	v_readfirstlane_b32 s7, v1
	s_mul_i32 s6, s6, s7
	s_mul_hi_u32 s6, s7, s6
	s_add_i32 s7, s7, s6
	s_mul_hi_u32 s6, s26, s7
	s_mul_i32 s19, s6, s8
	s_sub_i32 s1, s26, s19
	s_add_i32 s7, s6, 1
	s_sub_i32 s19, s1, s8
	s_cmp_ge_u32 s1, s8
	s_cselect_b32 s6, s7, s6
	s_cselect_b32 s1, s19, s1
	s_add_i32 s7, s6, 1
	s_cmp_ge_u32 s1, s8
	s_cselect_b32 s30, s7, s6
.LBB0_13:
	s_load_dwordx4 s[4:7], s[4:5], 0x0
	s_mul_i32 s26, s25, s24
	s_mul_hi_i32 s1, s25, s24
	s_mul_i32 s3, s26, s3
	s_mul_hi_u32 s27, s26, s2
	s_add_i32 s3, s27, s3
	s_mul_i32 s1, s1, s2
	s_add_i32 s3, s3, s1
	s_mul_i32 s2, s26, s2
	s_ashr_i32 s19, s24, 31
	s_ashr_i32 s34, s25, 31
	s_lshl_b64 s[2:3], s[2:3], 3
	s_mov_b32 s33, s24
	s_waitcnt lgkmcnt(0)
	s_add_u32 s36, s6, s2
	s_mul_i32 s38, s0, s38
	s_mul_i32 s0, s30, s9
	s_mul_hi_u32 s1, s30, s8
	s_addc_u32 s37, s7, s3
	v_and_b32_e32 v16, 0x3ff, v0
	s_add_i32 s0, s1, s0
	s_mul_i32 s1, s31, s8
	v_cvt_f32_u32_e32 v0, s33
	s_and_b32 s39, s16, 0xffff
	s_add_i32 s0, s0, s1
	s_mul_i32 s1, s30, s8
	s_sub_u32 s8, s28, s1
	s_subb_u32 s9, s29, s0
	s_bfe_i64 s[6:7], s[30:31], 0x200000
	s_mul_i32 s6, s30, s11
	s_mul_hi_u32 s11, s30, s10
	v_rcp_iflag_f32_e32 v0, v0
	s_add_i32 s6, s11, s6
	s_mul_i32 s7, s7, s10
	s_add_i32 s7, s6, s7
	s_mul_i32 s6, s30, s10
	s_mul_i32 s10, s8, s13
	s_mul_hi_u32 s11, s8, s12
	s_add_i32 s10, s11, s10
	s_mul_i32 s9, s9, s12
	s_ashr_i32 s40, s17, 31
	s_ashr_i32 s42, s18, 31
	s_add_i32 s9, s10, s9
	s_lshl_b64 s[6:7], s[6:7], 3
	v_mul_f32_e32 v0, 0x4f7ffffe, v0
	s_mul_i32 s8, s8, s12
	s_add_u32 s6, s4, s6
	v_cvt_u32_f32_e32 v17, v0
	v_sub_u32_e32 v1, v6, v2
	s_addc_u32 s7, s5, s7
	s_lshl_b64 s[4:5], s[8:9], 3
	v_add_u32_e32 v5, 1, v1
	s_brev_b32 s2, -2
	s_add_u32 s43, s6, s4
	s_mov_b32 s35, s25
	s_mov_b32 s41, s17
	v_cmp_gt_i32_e64 s[0:1], s25, v16
	v_cmp_gt_u32_e64 s[2:3], s2, v1
	s_addc_u32 s44, s7, s5
	v_max_i32_e32 v18, 1, v5
	s_mov_b64 s[8:9], 0
	v_mov_b32_e32 v1, 0
	s_branch .LBB0_15
.LBB0_14:                               ;   in Loop: Header=BB0_15 Depth=1
	s_or_b64 exec, exec, s[10:11]
	v_add_u32_e32 v4, s38, v4
	v_cmp_le_i32_e32 vcc, s24, v4
	s_or_b64 s[8:9], vcc, s[8:9]
	s_andn2_b64 exec, exec, s[8:9]
	s_cbranch_execz .LBB0_53
.LBB0_15:                               ; =>This Loop Header: Depth=1
                                        ;     Child Loop BB0_30 Depth 2
                                        ;       Child Loop BB0_46 Depth 3
                                        ;         Child Loop BB0_49 Depth 4
                                        ;           Child Loop BB0_51 Depth 5
	v_ashrrev_i32_e32 v3, 31, v4
	v_or_b32_e32 v7, s19, v3
	v_mov_b32_e32 v6, v1
	v_cmp_ne_u64_e32 vcc, 0, v[6:7]
                                        ; implicit-def: $vgpr6_vgpr7
	s_and_saveexec_b64 s[4:5], vcc
	s_xor_b64 s[4:5], exec, s[4:5]
	s_cbranch_execz .LBB0_17
; %bb.16:                               ;   in Loop: Header=BB0_15 Depth=1
	s_ashr_i32 s6, s33, 31
	s_add_i32 s7, s33, s6
	s_xor_b32 s7, s7, s6
	v_cvt_f32_u32_e32 v0, s7
	s_sub_i32 s10, 0, s7
	v_ashrrev_i32_e32 v6, 31, v4
	v_add_u32_e32 v7, v4, v6
	v_rcp_iflag_f32_e32 v0, v0
	v_xor_b32_e32 v7, v7, v6
	v_xor_b32_e32 v6, s6, v6
	v_mul_f32_e32 v0, 0x4f7ffffe, v0
	v_cvt_u32_f32_e32 v0, v0
	v_mul_lo_u32 v8, s10, v0
	v_mul_hi_u32 v8, v0, v8
	v_add_u32_e32 v0, v0, v8
	v_mul_hi_u32 v0, v7, v0
	v_mul_lo_u32 v8, v0, s7
	v_sub_u32_e32 v7, v7, v8
	v_add_u32_e32 v9, 1, v0
	v_subrev_u32_e32 v8, s7, v7
	v_cmp_le_u32_e32 vcc, s7, v7
	v_cndmask_b32_e32 v7, v7, v8, vcc
	v_cndmask_b32_e32 v0, v0, v9, vcc
	v_add_u32_e32 v8, 1, v0
	v_cmp_le_u32_e32 vcc, s7, v7
	v_cndmask_b32_e32 v0, v0, v8, vcc
	v_xor_b32_e32 v0, v0, v6
	v_sub_u32_e32 v6, v0, v6
	v_ashrrev_i32_e32 v7, 31, v6
.LBB0_17:                               ;   in Loop: Header=BB0_15 Depth=1
	s_andn2_saveexec_b64 s[4:5], s[4:5]
	s_cbranch_execz .LBB0_19
; %bb.18:                               ;   in Loop: Header=BB0_15 Depth=1
	s_sub_i32 s6, 0, s33
	v_mul_lo_u32 v0, s6, v17
	v_mul_hi_u32 v0, v17, v0
	v_add_u32_e32 v0, v17, v0
	v_mul_hi_u32 v0, v4, v0
	v_mul_lo_u32 v6, v0, s33
	v_sub_u32_e32 v6, v4, v6
	v_subrev_u32_e32 v7, s33, v6
	v_cmp_le_u32_e32 vcc, s33, v6
	v_cndmask_b32_e32 v6, v6, v7, vcc
	v_add_u32_e32 v7, 1, v0
	v_cndmask_b32_e32 v0, v0, v7, vcc
	v_add_u32_e32 v7, 1, v0
	v_cmp_le_u32_e32 vcc, s33, v6
	v_cndmask_b32_e32 v0, v0, v7, vcc
	v_pk_mov_b32 v[6:7], v[0:1], v[0:1] op_sel:[0,1]
.LBB0_19:                               ;   in Loop: Header=BB0_15 Depth=1
	s_or_b64 exec, exec, s[4:5]
	v_mul_lo_u32 v0, v7, s33
	v_mul_lo_u32 v7, v6, s19
	v_mad_u64_u32 v[8:9], s[4:5], v6, s33, 0
	v_add3_u32 v0, v9, v7, v0
	v_sub_co_u32_e32 v7, vcc, v4, v8
	v_subb_co_u32_e32 v0, vcc, v3, v0, vcc
	v_mul_lo_u32 v0, v0, s41
	v_mul_lo_u32 v8, v7, s40
	v_mad_u64_u32 v[10:11], s[4:5], v7, s41, 0
	v_add3_u32 v11, v11, v8, v0
	v_or_b32_e32 v9, s19, v11
	v_mov_b32_e32 v8, v1
	v_cmp_ne_u64_e32 vcc, 0, v[8:9]
                                        ; implicit-def: $vgpr8_vgpr9
	s_and_saveexec_b64 s[4:5], vcc
	s_xor_b64 s[6:7], exec, s[4:5]
	s_cbranch_execz .LBB0_21
; %bb.20:                               ;   in Loop: Header=BB0_15 Depth=1
	s_add_u32 s4, s33, s19
	s_mov_b32 s10, s19
	s_mov_b32 s11, s19
	s_addc_u32 s5, s19, s19
	s_xor_b64 s[12:13], s[4:5], s[10:11]
	v_cvt_f32_u32_e32 v0, s12
	v_cvt_f32_u32_e32 v7, s13
	s_sub_u32 s4, 0, s12
	s_subb_u32 s5, 0, s13
	v_mac_f32_e32 v0, 0x4f800000, v7
	v_rcp_f32_e32 v0, v0
	v_mul_f32_e32 v0, 0x5f7ffffc, v0
	v_mul_f32_e32 v7, 0x2f800000, v0
	v_trunc_f32_e32 v7, v7
	v_mac_f32_e32 v0, 0xcf800000, v7
	v_cvt_u32_f32_e32 v7, v7
	v_cvt_u32_f32_e32 v0, v0
	v_mul_lo_u32 v8, s4, v7
	v_mul_hi_u32 v12, s4, v0
	v_mul_lo_u32 v9, s5, v0
	v_add_u32_e32 v8, v12, v8
	v_mul_lo_u32 v13, s4, v0
	v_add_u32_e32 v8, v8, v9
	v_mul_lo_u32 v12, v0, v8
	v_mul_hi_u32 v14, v0, v13
	v_mul_hi_u32 v9, v0, v8
	v_add_co_u32_e32 v12, vcc, v14, v12
	v_addc_co_u32_e32 v9, vcc, 0, v9, vcc
	v_mul_hi_u32 v15, v7, v13
	v_mul_lo_u32 v13, v7, v13
	v_add_co_u32_e32 v12, vcc, v12, v13
	v_mul_hi_u32 v14, v7, v8
	v_addc_co_u32_e32 v9, vcc, v9, v15, vcc
	v_addc_co_u32_e32 v12, vcc, 0, v14, vcc
	v_mul_lo_u32 v8, v7, v8
	v_add_co_u32_e32 v8, vcc, v9, v8
	v_addc_co_u32_e32 v9, vcc, 0, v12, vcc
	v_add_co_u32_e32 v0, vcc, v0, v8
	v_addc_co_u32_e32 v7, vcc, v7, v9, vcc
	v_mul_lo_u32 v8, s4, v7
	v_mul_hi_u32 v9, s4, v0
	v_add_u32_e32 v8, v9, v8
	v_mul_lo_u32 v9, s5, v0
	v_add_u32_e32 v8, v8, v9
	v_mul_lo_u32 v12, s4, v0
	v_mul_hi_u32 v13, v7, v12
	v_mul_lo_u32 v14, v7, v12
	v_mul_lo_u32 v19, v0, v8
	v_mul_hi_u32 v12, v0, v12
	v_mul_hi_u32 v15, v0, v8
	v_add_co_u32_e32 v12, vcc, v12, v19
	v_addc_co_u32_e32 v15, vcc, 0, v15, vcc
	v_add_co_u32_e32 v12, vcc, v12, v14
	v_mul_hi_u32 v9, v7, v8
	v_addc_co_u32_e32 v12, vcc, v15, v13, vcc
	v_addc_co_u32_e32 v9, vcc, 0, v9, vcc
	v_mul_lo_u32 v8, v7, v8
	v_add_co_u32_e32 v8, vcc, v12, v8
	v_addc_co_u32_e32 v9, vcc, 0, v9, vcc
	v_add_co_u32_e32 v0, vcc, v0, v8
	v_addc_co_u32_e32 v7, vcc, v7, v9, vcc
	v_ashrrev_i32_e32 v12, 31, v11
	v_add_co_u32_e32 v8, vcc, v10, v12
	v_addc_co_u32_e32 v9, vcc, v11, v12, vcc
	v_xor_b32_e32 v14, v8, v12
	v_xor_b32_e32 v13, v9, v12
	v_mad_u64_u32 v[8:9], s[4:5], v14, v7, 0
	v_mul_hi_u32 v10, v14, v0
	v_add_co_u32_e32 v15, vcc, v10, v8
	v_addc_co_u32_e32 v19, vcc, 0, v9, vcc
	v_mad_u64_u32 v[10:11], s[4:5], v13, v0, 0
	v_add_co_u32_e32 v0, vcc, v15, v10
	v_mad_u64_u32 v[8:9], s[4:5], v13, v7, 0
	v_addc_co_u32_e32 v0, vcc, v19, v11, vcc
	v_addc_co_u32_e32 v7, vcc, 0, v9, vcc
	v_add_co_u32_e32 v0, vcc, v0, v8
	v_addc_co_u32_e32 v7, vcc, 0, v7, vcc
	v_mul_lo_u32 v10, s13, v0
	v_mul_lo_u32 v7, s12, v7
	v_mad_u64_u32 v[8:9], s[4:5], s12, v0, 0
	v_add3_u32 v7, v9, v7, v10
	v_sub_u32_e32 v9, v13, v7
	v_mov_b32_e32 v10, s13
	v_sub_co_u32_e32 v8, vcc, v14, v8
	v_subb_co_u32_e64 v9, s[4:5], v9, v10, vcc
	v_subrev_co_u32_e64 v10, s[4:5], s12, v8
	v_subbrev_co_u32_e64 v9, s[4:5], 0, v9, s[4:5]
	v_cmp_le_u32_e64 s[4:5], s13, v9
	v_subb_co_u32_e32 v7, vcc, v13, v7, vcc
	v_cndmask_b32_e64 v11, 0, -1, s[4:5]
	v_cmp_le_u32_e64 s[4:5], s12, v10
	v_cmp_le_u32_e32 vcc, s13, v7
	v_cndmask_b32_e64 v10, 0, -1, s[4:5]
	v_cmp_eq_u32_e64 s[4:5], s13, v9
	v_cndmask_b32_e64 v13, 0, -1, vcc
	v_cmp_le_u32_e32 vcc, s12, v8
	v_cndmask_b32_e64 v9, v11, v10, s[4:5]
	v_cndmask_b32_e64 v8, 0, -1, vcc
	v_cmp_eq_u32_e32 vcc, s13, v7
	v_add_co_u32_e64 v10, s[4:5], 2, v0
	v_add_co_u32_e64 v11, s[4:5], 1, v0
	v_cndmask_b32_e32 v7, v13, v8, vcc
	v_cmp_ne_u32_e32 vcc, 0, v9
	v_cndmask_b32_e32 v8, v11, v10, vcc
	v_cmp_ne_u32_e32 vcc, 0, v7
	v_cndmask_b32_e32 v0, v0, v8, vcc
	v_xor_b32_e32 v7, s10, v12
	v_xor_b32_e32 v0, v0, v7
	v_sub_co_u32_e32 v8, vcc, v0, v7
                                        ; implicit-def: $vgpr10_vgpr11
.LBB0_21:                               ;   in Loop: Header=BB0_15 Depth=1
	s_andn2_saveexec_b64 s[4:5], s[6:7]
	s_cbranch_execz .LBB0_23
; %bb.22:                               ;   in Loop: Header=BB0_15 Depth=1
	s_sub_i32 s6, 0, s33
	v_mul_lo_u32 v0, s6, v17
	v_mul_hi_u32 v0, v17, v0
	v_add_u32_e32 v0, v17, v0
	v_mul_hi_u32 v0, v10, v0
	v_mul_lo_u32 v7, v0, s33
	v_sub_u32_e32 v7, v10, v7
	v_subrev_u32_e32 v8, s33, v7
	v_cmp_le_u32_e32 vcc, s33, v7
	v_cndmask_b32_e32 v7, v7, v8, vcc
	v_add_u32_e32 v8, 1, v0
	v_cndmask_b32_e32 v0, v0, v8, vcc
	v_add_u32_e32 v8, 1, v0
	v_cmp_le_u32_e32 vcc, s33, v7
	v_cndmask_b32_e32 v8, v0, v8, vcc
.LBB0_23:                               ;   in Loop: Header=BB0_15 Depth=1
	s_or_b64 exec, exec, s[4:5]
	v_add_co_u32_e32 v0, vcc, 1, v4
	v_addc_co_u32_e32 v3, vcc, 0, v3, vcc
	v_mul_lo_u32 v7, v0, s40
	v_mul_lo_u32 v3, v3, s41
	v_mad_u64_u32 v[10:11], s[4:5], v0, s41, -1
	v_add3_u32 v11, v3, v11, v7
	v_or_b32_e32 v13, s19, v11
	v_mov_b32_e32 v12, v1
	v_cmp_ne_u64_e32 vcc, 0, v[12:13]
                                        ; implicit-def: $vgpr12_vgpr13
	s_and_saveexec_b64 s[4:5], vcc
	s_xor_b64 s[6:7], exec, s[4:5]
	s_cbranch_execnz .LBB0_26
; %bb.24:                               ;   in Loop: Header=BB0_15 Depth=1
	s_andn2_saveexec_b64 s[4:5], s[6:7]
	s_cbranch_execnz .LBB0_27
.LBB0_25:                               ;   in Loop: Header=BB0_15 Depth=1
	s_or_b64 exec, exec, s[4:5]
	s_and_saveexec_b64 s[10:11], s[0:1]
	s_cbranch_execz .LBB0_14
	s_branch .LBB0_28
.LBB0_26:                               ;   in Loop: Header=BB0_15 Depth=1
	s_add_u32 s4, s33, s19
	s_mov_b32 s10, s19
	s_mov_b32 s11, s19
	s_addc_u32 s5, s19, s19
	s_xor_b64 s[12:13], s[4:5], s[10:11]
	v_cvt_f32_u32_e32 v0, s12
	v_cvt_f32_u32_e32 v3, s13
	s_sub_u32 s4, 0, s12
	s_subb_u32 s5, 0, s13
	v_mac_f32_e32 v0, 0x4f800000, v3
	v_rcp_f32_e32 v0, v0
	v_mul_f32_e32 v0, 0x5f7ffffc, v0
	v_mul_f32_e32 v3, 0x2f800000, v0
	v_trunc_f32_e32 v3, v3
	v_mac_f32_e32 v0, 0xcf800000, v3
	v_cvt_u32_f32_e32 v3, v3
	v_cvt_u32_f32_e32 v0, v0
	v_mul_lo_u32 v7, s4, v3
	v_mul_hi_u32 v12, s4, v0
	v_mul_lo_u32 v9, s5, v0
	v_add_u32_e32 v7, v12, v7
	v_mul_lo_u32 v13, s4, v0
	v_add_u32_e32 v7, v7, v9
	v_mul_lo_u32 v12, v0, v7
	v_mul_hi_u32 v14, v0, v13
	v_mul_hi_u32 v9, v0, v7
	v_add_co_u32_e32 v12, vcc, v14, v12
	v_addc_co_u32_e32 v9, vcc, 0, v9, vcc
	v_mul_hi_u32 v15, v3, v13
	v_mul_lo_u32 v13, v3, v13
	v_add_co_u32_e32 v12, vcc, v12, v13
	v_mul_hi_u32 v14, v3, v7
	v_addc_co_u32_e32 v9, vcc, v9, v15, vcc
	v_addc_co_u32_e32 v12, vcc, 0, v14, vcc
	v_mul_lo_u32 v7, v3, v7
	v_add_co_u32_e32 v7, vcc, v9, v7
	v_addc_co_u32_e32 v9, vcc, 0, v12, vcc
	v_add_co_u32_e32 v0, vcc, v0, v7
	v_addc_co_u32_e32 v3, vcc, v3, v9, vcc
	v_mul_lo_u32 v7, s4, v3
	v_mul_hi_u32 v9, s4, v0
	v_add_u32_e32 v7, v9, v7
	v_mul_lo_u32 v9, s5, v0
	v_add_u32_e32 v7, v7, v9
	v_mul_lo_u32 v12, s4, v0
	v_mul_hi_u32 v13, v3, v12
	v_mul_lo_u32 v14, v3, v12
	v_mul_lo_u32 v19, v0, v7
	v_mul_hi_u32 v12, v0, v12
	v_mul_hi_u32 v15, v0, v7
	v_add_co_u32_e32 v12, vcc, v12, v19
	v_addc_co_u32_e32 v15, vcc, 0, v15, vcc
	v_add_co_u32_e32 v12, vcc, v12, v14
	v_mul_hi_u32 v9, v3, v7
	v_addc_co_u32_e32 v12, vcc, v15, v13, vcc
	v_addc_co_u32_e32 v9, vcc, 0, v9, vcc
	v_mul_lo_u32 v7, v3, v7
	v_add_co_u32_e32 v7, vcc, v12, v7
	v_addc_co_u32_e32 v9, vcc, 0, v9, vcc
	v_add_co_u32_e32 v0, vcc, v0, v7
	v_addc_co_u32_e32 v3, vcc, v3, v9, vcc
	v_ashrrev_i32_e32 v7, 31, v11
	v_add_co_u32_e32 v9, vcc, v10, v7
	v_addc_co_u32_e32 v10, vcc, v11, v7, vcc
	v_xor_b32_e32 v9, v9, v7
	v_xor_b32_e32 v14, v10, v7
	v_mad_u64_u32 v[10:11], s[4:5], v9, v3, 0
	v_mul_hi_u32 v12, v9, v0
	v_add_co_u32_e32 v15, vcc, v12, v10
	v_addc_co_u32_e32 v19, vcc, 0, v11, vcc
	v_mad_u64_u32 v[12:13], s[4:5], v14, v0, 0
	v_add_co_u32_e32 v0, vcc, v15, v12
	v_mad_u64_u32 v[10:11], s[4:5], v14, v3, 0
	v_addc_co_u32_e32 v0, vcc, v19, v13, vcc
	v_addc_co_u32_e32 v3, vcc, 0, v11, vcc
	v_add_co_u32_e32 v0, vcc, v0, v10
	v_addc_co_u32_e32 v3, vcc, 0, v3, vcc
	v_mul_lo_u32 v12, s13, v0
	v_mul_lo_u32 v3, s12, v3
	v_mad_u64_u32 v[10:11], s[4:5], s12, v0, 0
	v_add3_u32 v3, v11, v3, v12
	v_sub_u32_e32 v11, v14, v3
	v_mov_b32_e32 v12, s13
	v_sub_co_u32_e32 v9, vcc, v9, v10
	v_subb_co_u32_e64 v10, s[4:5], v11, v12, vcc
	v_subrev_co_u32_e64 v11, s[4:5], s12, v9
	v_subbrev_co_u32_e64 v10, s[4:5], 0, v10, s[4:5]
	v_cmp_le_u32_e64 s[4:5], s13, v10
	v_subb_co_u32_e32 v3, vcc, v14, v3, vcc
	v_cndmask_b32_e64 v12, 0, -1, s[4:5]
	v_cmp_le_u32_e64 s[4:5], s12, v11
	v_cmp_le_u32_e32 vcc, s13, v3
	v_cndmask_b32_e64 v11, 0, -1, s[4:5]
	v_cmp_eq_u32_e64 s[4:5], s13, v10
	v_cndmask_b32_e64 v13, 0, -1, vcc
	v_cmp_le_u32_e32 vcc, s12, v9
	v_cndmask_b32_e64 v10, v12, v11, s[4:5]
	v_cndmask_b32_e64 v9, 0, -1, vcc
	v_cmp_eq_u32_e32 vcc, s13, v3
	v_add_co_u32_e64 v11, s[4:5], 2, v0
	v_add_co_u32_e64 v12, s[4:5], 1, v0
	v_cndmask_b32_e32 v3, v13, v9, vcc
	v_cmp_ne_u32_e32 vcc, 0, v10
	v_cndmask_b32_e32 v9, v12, v11, vcc
	v_cmp_ne_u32_e32 vcc, 0, v3
	v_cndmask_b32_e32 v0, v0, v9, vcc
	v_xor_b32_e32 v3, s10, v7
	v_xor_b32_e32 v0, v0, v3
	v_sub_co_u32_e32 v12, vcc, v0, v3
                                        ; implicit-def: $vgpr10_vgpr11
	s_andn2_saveexec_b64 s[4:5], s[6:7]
	s_cbranch_execz .LBB0_25
.LBB0_27:                               ;   in Loop: Header=BB0_15 Depth=1
	s_sub_i32 s6, 0, s33
	v_mul_lo_u32 v0, s6, v17
	v_mul_hi_u32 v0, v17, v0
	v_add_u32_e32 v0, v17, v0
	v_mul_hi_u32 v0, v10, v0
	v_mul_lo_u32 v3, v0, s33
	v_sub_u32_e32 v3, v10, v3
	v_subrev_u32_e32 v7, s33, v3
	v_cmp_le_u32_e32 vcc, s33, v3
	v_cndmask_b32_e32 v3, v3, v7, vcc
	v_add_u32_e32 v7, 1, v0
	v_cndmask_b32_e32 v0, v0, v7, vcc
	v_add_u32_e32 v7, 1, v0
	v_cmp_le_u32_e32 vcc, s33, v3
	v_cndmask_b32_e32 v12, v0, v7, vcc
	s_or_b64 exec, exec, s[4:5]
	s_and_saveexec_b64 s[10:11], s[0:1]
	s_cbranch_execz .LBB0_14
.LBB0_28:                               ;   in Loop: Header=BB0_15 Depth=1
	v_mad_u64_u32 v[6:7], s[4:5], v6, s41, v[8:9]
	v_mul_lo_u32 v8, v4, s25
	v_ashrrev_i32_e32 v9, 31, v8
	v_sub_u32_e32 v0, v12, v6
	v_lshlrev_b64 v[8:9], 3, v[8:9]
	v_add_u32_e32 v3, 1, v0
	v_mov_b32_e32 v0, s37
	v_add_co_u32_e32 v7, vcc, s36, v8
	v_addc_co_u32_e32 v19, vcc, v0, v9, vcc
	v_cmp_lt_i32_e64 s[4:5], 0, v3
	v_mul_lo_u32 v20, v3, v5
	s_mov_b64 s[12:13], 0
	v_mov_b32_e32 v0, v16
	s_branch .LBB0_30
.LBB0_29:                               ;   in Loop: Header=BB0_30 Depth=2
	v_mul_lo_u32 v10, v20, v11
	v_cvt_f64_i32_e32 v[10:11], v10
	v_div_scale_f64 v[14:15], s[6:7], v[10:11], v[10:11], v[8:9]
	v_rcp_f64_e32 v[22:23], v[14:15]
	v_lshlrev_b64 v[12:13], 3, v[0:1]
	v_add_co_u32_e32 v12, vcc, v7, v12
	v_fma_f64 v[24:25], -v[14:15], v[22:23], 1.0
	v_fmac_f64_e32 v[22:23], v[22:23], v[24:25]
	v_addc_co_u32_e32 v13, vcc, v19, v13, vcc
	v_fma_f64 v[24:25], -v[14:15], v[22:23], 1.0
	v_fmac_f64_e32 v[22:23], v[22:23], v[24:25]
	v_div_scale_f64 v[24:25], vcc, v[8:9], v[10:11], v[8:9]
	v_mul_f64 v[26:27], v[24:25], v[22:23]
	v_fma_f64 v[14:15], -v[14:15], v[26:27], v[24:25]
	v_add_u32_e32 v0, s39, v0
	s_nop 0
	v_div_fmas_f64 v[14:15], v[14:15], v[22:23], v[26:27]
	v_cmp_le_i32_e32 vcc, s25, v0
	v_div_fixup_f64 v[8:9], v[14:15], v[10:11], v[8:9]
	s_or_b64 s[12:13], vcc, s[12:13]
	global_store_dwordx2 v[12:13], v[8:9], off
	s_andn2_b64 exec, exec, s[12:13]
	s_cbranch_execz .LBB0_14
.LBB0_30:                               ;   Parent Loop BB0_15 Depth=1
                                        ; =>  This Loop Header: Depth=2
                                        ;       Child Loop BB0_46 Depth 3
                                        ;         Child Loop BB0_49 Depth 4
                                        ;           Child Loop BB0_51 Depth 5
	v_or_b32_e64 v9, 0, s34
	v_mov_b32_e32 v8, v1
	v_cmp_ne_u64_e32 vcc, 0, v[8:9]
                                        ; implicit-def: $vgpr8_vgpr9
	s_and_saveexec_b64 s[6:7], vcc
	s_xor_b64 s[16:17], exec, s[6:7]
	s_cbranch_execz .LBB0_32
; %bb.31:                               ;   in Loop: Header=BB0_30 Depth=2
	s_add_u32 s6, s35, s34
	s_mov_b32 s26, s34
	s_mov_b32 s27, s34
	s_addc_u32 s7, s34, s34
	s_xor_b64 s[28:29], s[6:7], s[26:27]
	v_cvt_f32_u32_e32 v8, s28
	v_cvt_f32_u32_e32 v9, s29
	s_sub_u32 s6, 0, s28
	s_subb_u32 s7, 0, s29
	v_mac_f32_e32 v8, 0x4f800000, v9
	v_rcp_f32_e32 v8, v8
	v_mul_f32_e32 v8, 0x5f7ffffc, v8
	v_mul_f32_e32 v9, 0x2f800000, v8
	v_trunc_f32_e32 v9, v9
	v_mac_f32_e32 v8, 0xcf800000, v9
	v_cvt_u32_f32_e32 v9, v9
	v_cvt_u32_f32_e32 v8, v8
	v_mul_lo_u32 v10, s6, v9
	v_mul_hi_u32 v12, s6, v8
	v_mul_lo_u32 v11, s7, v8
	v_add_u32_e32 v10, v12, v10
	v_mul_lo_u32 v13, s6, v8
	v_add_u32_e32 v10, v10, v11
	v_mul_lo_u32 v12, v8, v10
	v_mul_hi_u32 v14, v8, v13
	v_mul_hi_u32 v11, v8, v10
	v_add_co_u32_e32 v12, vcc, v14, v12
	v_addc_co_u32_e32 v11, vcc, 0, v11, vcc
	v_mul_hi_u32 v15, v9, v13
	v_mul_lo_u32 v13, v9, v13
	v_add_co_u32_e32 v12, vcc, v12, v13
	v_mul_hi_u32 v14, v9, v10
	v_addc_co_u32_e32 v11, vcc, v11, v15, vcc
	v_addc_co_u32_e32 v12, vcc, 0, v14, vcc
	v_mul_lo_u32 v10, v9, v10
	v_add_co_u32_e32 v10, vcc, v11, v10
	v_addc_co_u32_e32 v11, vcc, 0, v12, vcc
	v_add_co_u32_e32 v8, vcc, v8, v10
	v_addc_co_u32_e32 v9, vcc, v9, v11, vcc
	v_mul_lo_u32 v10, s6, v9
	v_mul_hi_u32 v11, s6, v8
	v_add_u32_e32 v10, v11, v10
	v_mul_lo_u32 v11, s7, v8
	v_add_u32_e32 v10, v10, v11
	v_mul_lo_u32 v12, s6, v8
	v_mul_hi_u32 v13, v9, v12
	v_mul_lo_u32 v14, v9, v12
	v_mul_lo_u32 v21, v8, v10
	v_mul_hi_u32 v12, v8, v12
	v_mul_hi_u32 v15, v8, v10
	v_add_co_u32_e32 v12, vcc, v12, v21
	v_addc_co_u32_e32 v15, vcc, 0, v15, vcc
	v_add_co_u32_e32 v12, vcc, v12, v14
	v_mul_hi_u32 v11, v9, v10
	v_addc_co_u32_e32 v12, vcc, v15, v13, vcc
	v_addc_co_u32_e32 v11, vcc, 0, v11, vcc
	v_mul_lo_u32 v10, v9, v10
	v_add_co_u32_e32 v10, vcc, v12, v10
	v_addc_co_u32_e32 v11, vcc, 0, v11, vcc
	v_add_co_u32_e32 v10, vcc, v8, v10
	v_addc_co_u32_e32 v11, vcc, v9, v11, vcc
	v_ashrrev_i32_e64 v12, 31, 0
	v_add_co_u32_e32 v8, vcc, v0, v12
	v_addc_co_u32_e32 v9, vcc, 0, v12, vcc
	v_xor_b32_e32 v14, v8, v12
	v_xor_b32_e32 v13, v9, v12
	v_mad_u64_u32 v[8:9], s[6:7], v14, v11, 0
	v_mul_hi_u32 v15, v14, v10
	v_add_co_u32_e32 v15, vcc, v15, v8
	v_addc_co_u32_e32 v21, vcc, 0, v9, vcc
	v_mad_u64_u32 v[8:9], s[6:7], v13, v11, 0
	v_mad_u64_u32 v[10:11], s[6:7], v13, v10, 0
	v_add_co_u32_e32 v10, vcc, v15, v10
	v_addc_co_u32_e32 v10, vcc, v21, v11, vcc
	v_addc_co_u32_e32 v9, vcc, 0, v9, vcc
	v_add_co_u32_e32 v10, vcc, v10, v8
	v_addc_co_u32_e32 v11, vcc, 0, v9, vcc
	v_mul_lo_u32 v15, s29, v10
	v_mul_lo_u32 v21, s28, v11
	v_mad_u64_u32 v[8:9], s[6:7], s28, v10, 0
	v_add3_u32 v9, v9, v21, v15
	v_sub_u32_e32 v15, v13, v9
	v_mov_b32_e32 v21, s29
	v_sub_co_u32_e32 v8, vcc, v14, v8
	v_subb_co_u32_e64 v14, s[6:7], v15, v21, vcc
	v_subrev_co_u32_e64 v15, s[6:7], s28, v8
	v_subbrev_co_u32_e64 v14, s[6:7], 0, v14, s[6:7]
	v_cmp_le_u32_e64 s[6:7], s29, v14
	v_cndmask_b32_e64 v21, 0, -1, s[6:7]
	v_cmp_le_u32_e64 s[6:7], s28, v15
	v_cndmask_b32_e64 v15, 0, -1, s[6:7]
	v_cmp_eq_u32_e64 s[6:7], s29, v14
	v_cndmask_b32_e64 v14, v21, v15, s[6:7]
	v_add_co_u32_e64 v15, s[6:7], 2, v10
	v_subb_co_u32_e32 v9, vcc, v13, v9, vcc
	v_addc_co_u32_e64 v21, s[6:7], 0, v11, s[6:7]
	v_cmp_le_u32_e32 vcc, s29, v9
	v_add_co_u32_e64 v22, s[6:7], 1, v10
	v_cndmask_b32_e64 v13, 0, -1, vcc
	v_cmp_le_u32_e32 vcc, s28, v8
	v_addc_co_u32_e64 v23, s[6:7], 0, v11, s[6:7]
	v_cndmask_b32_e64 v8, 0, -1, vcc
	v_cmp_eq_u32_e32 vcc, s29, v9
	v_cmp_ne_u32_e64 s[6:7], 0, v14
	v_cndmask_b32_e32 v8, v13, v8, vcc
	v_cndmask_b32_e64 v14, v23, v21, s[6:7]
	v_cmp_ne_u32_e32 vcc, 0, v8
	v_cndmask_b32_e64 v9, v22, v15, s[6:7]
	v_cndmask_b32_e32 v8, v11, v14, vcc
	v_cndmask_b32_e32 v9, v10, v9, vcc
	v_xor_b32_e32 v10, s27, v12
	v_xor_b32_e32 v11, s26, v12
	;; [unrolled: 1-line block ×4, first 2 shown]
	v_sub_co_u32_e32 v8, vcc, v8, v11
	v_subb_co_u32_e32 v9, vcc, v12, v10, vcc
.LBB0_32:                               ;   in Loop: Header=BB0_30 Depth=2
	s_or_saveexec_b64 s[6:7], s[16:17]
	v_cvt_f32_u32_e32 v21, s35
	s_xor_b64 exec, exec, s[6:7]
	s_cbranch_execz .LBB0_34
; %bb.33:                               ;   in Loop: Header=BB0_30 Depth=2
	v_rcp_iflag_f32_e32 v8, v21
	s_sub_i32 s16, 0, s35
	v_mul_f32_e32 v8, 0x4f7ffffe, v8
	v_cvt_u32_f32_e32 v8, v8
	v_mul_lo_u32 v9, s16, v8
	v_mul_hi_u32 v9, v8, v9
	v_add_u32_e32 v8, v8, v9
	v_mul_hi_u32 v8, v0, v8
	v_mul_lo_u32 v9, v8, s35
	v_sub_u32_e32 v9, v0, v9
	v_add_u32_e32 v10, 1, v8
	v_subrev_u32_e32 v11, s35, v9
	v_cmp_le_u32_e32 vcc, s35, v9
	v_cndmask_b32_e32 v9, v9, v11, vcc
	v_cndmask_b32_e32 v8, v8, v10, vcc
	v_add_u32_e32 v10, 1, v8
	v_cmp_le_u32_e32 vcc, s35, v9
	v_cndmask_b32_e32 v8, v8, v10, vcc
	v_mov_b32_e32 v9, v1
.LBB0_34:                               ;   in Loop: Header=BB0_30 Depth=2
	s_or_b64 exec, exec, s[6:7]
	v_mul_lo_u32 v9, v9, s35
	v_mul_lo_u32 v12, v8, s34
	v_mad_u64_u32 v[10:11], s[6:7], v8, s35, 0
	v_add3_u32 v9, v11, v12, v9
	v_sub_co_u32_e32 v10, vcc, v0, v10
	v_subb_co_u32_e32 v9, vcc, 0, v9, vcc
	v_mul_lo_u32 v9, v9, s18
	v_mul_lo_u32 v11, v10, s42
	v_mad_u64_u32 v[12:13], s[6:7], v10, s18, 0
	v_add3_u32 v13, v13, v11, v9
	v_or_b32_e32 v11, s34, v13
	v_mov_b32_e32 v10, v1
	v_cmp_ne_u64_e32 vcc, 0, v[10:11]
                                        ; implicit-def: $vgpr10_vgpr11
	s_and_saveexec_b64 s[6:7], vcc
	s_xor_b64 s[16:17], exec, s[6:7]
	s_cbranch_execz .LBB0_36
; %bb.35:                               ;   in Loop: Header=BB0_30 Depth=2
	s_add_u32 s6, s35, s34
	s_mov_b32 s26, s34
	s_mov_b32 s27, s34
	s_addc_u32 s7, s34, s34
	s_xor_b64 s[28:29], s[6:7], s[26:27]
	v_cvt_f32_u32_e32 v9, s28
	v_cvt_f32_u32_e32 v10, s29
	s_sub_u32 s6, 0, s28
	s_subb_u32 s7, 0, s29
	v_mac_f32_e32 v9, 0x4f800000, v10
	v_rcp_f32_e32 v9, v9
	v_mul_f32_e32 v9, 0x5f7ffffc, v9
	v_mul_f32_e32 v10, 0x2f800000, v9
	v_trunc_f32_e32 v10, v10
	v_mac_f32_e32 v9, 0xcf800000, v10
	v_cvt_u32_f32_e32 v10, v10
	v_cvt_u32_f32_e32 v9, v9
	v_mul_lo_u32 v11, s6, v10
	v_mul_hi_u32 v15, s6, v9
	v_mul_lo_u32 v14, s7, v9
	v_add_u32_e32 v11, v15, v11
	v_mul_lo_u32 v22, s6, v9
	v_add_u32_e32 v11, v11, v14
	v_mul_lo_u32 v15, v9, v11
	v_mul_hi_u32 v23, v9, v22
	v_mul_hi_u32 v14, v9, v11
	v_add_co_u32_e32 v15, vcc, v23, v15
	v_addc_co_u32_e32 v14, vcc, 0, v14, vcc
	v_mul_hi_u32 v24, v10, v22
	v_mul_lo_u32 v22, v10, v22
	v_add_co_u32_e32 v15, vcc, v15, v22
	v_mul_hi_u32 v23, v10, v11
	v_addc_co_u32_e32 v14, vcc, v14, v24, vcc
	v_addc_co_u32_e32 v15, vcc, 0, v23, vcc
	v_mul_lo_u32 v11, v10, v11
	v_add_co_u32_e32 v11, vcc, v14, v11
	v_addc_co_u32_e32 v14, vcc, 0, v15, vcc
	v_add_co_u32_e32 v9, vcc, v9, v11
	v_addc_co_u32_e32 v10, vcc, v10, v14, vcc
	v_mul_lo_u32 v11, s6, v10
	v_mul_hi_u32 v14, s6, v9
	v_add_u32_e32 v11, v14, v11
	v_mul_lo_u32 v14, s7, v9
	v_add_u32_e32 v11, v11, v14
	v_mul_lo_u32 v15, s6, v9
	v_mul_hi_u32 v22, v10, v15
	v_mul_lo_u32 v23, v10, v15
	v_mul_lo_u32 v25, v9, v11
	v_mul_hi_u32 v15, v9, v15
	v_mul_hi_u32 v24, v9, v11
	v_add_co_u32_e32 v15, vcc, v15, v25
	v_addc_co_u32_e32 v24, vcc, 0, v24, vcc
	v_add_co_u32_e32 v15, vcc, v15, v23
	v_mul_hi_u32 v14, v10, v11
	v_addc_co_u32_e32 v15, vcc, v24, v22, vcc
	v_addc_co_u32_e32 v14, vcc, 0, v14, vcc
	v_mul_lo_u32 v11, v10, v11
	v_add_co_u32_e32 v11, vcc, v15, v11
	v_addc_co_u32_e32 v14, vcc, 0, v14, vcc
	v_add_co_u32_e32 v9, vcc, v9, v11
	v_addc_co_u32_e32 v14, vcc, v10, v14, vcc
	v_ashrrev_i32_e32 v15, 31, v13
	v_add_co_u32_e32 v10, vcc, v12, v15
	v_addc_co_u32_e32 v11, vcc, v13, v15, vcc
	v_xor_b32_e32 v23, v10, v15
	v_xor_b32_e32 v22, v11, v15
	v_mad_u64_u32 v[10:11], s[6:7], v23, v14, 0
	v_mul_hi_u32 v12, v23, v9
	v_add_co_u32_e32 v24, vcc, v12, v10
	v_addc_co_u32_e32 v25, vcc, 0, v11, vcc
	v_mad_u64_u32 v[12:13], s[6:7], v22, v9, 0
	v_add_co_u32_e32 v9, vcc, v24, v12
	v_mad_u64_u32 v[10:11], s[6:7], v22, v14, 0
	v_addc_co_u32_e32 v9, vcc, v25, v13, vcc
	v_addc_co_u32_e32 v11, vcc, 0, v11, vcc
	v_add_co_u32_e32 v9, vcc, v9, v10
	v_addc_co_u32_e32 v10, vcc, 0, v11, vcc
	v_mul_lo_u32 v12, s29, v9
	v_mul_lo_u32 v13, s28, v10
	v_mad_u64_u32 v[10:11], s[6:7], s28, v9, 0
	v_add3_u32 v11, v11, v13, v12
	v_sub_u32_e32 v12, v22, v11
	v_mov_b32_e32 v13, s29
	v_sub_co_u32_e32 v10, vcc, v23, v10
	v_subb_co_u32_e64 v12, s[6:7], v12, v13, vcc
	v_subrev_co_u32_e64 v13, s[6:7], s28, v10
	v_subbrev_co_u32_e64 v12, s[6:7], 0, v12, s[6:7]
	v_cmp_le_u32_e64 s[6:7], s29, v12
	v_subb_co_u32_e32 v11, vcc, v22, v11, vcc
	v_cndmask_b32_e64 v14, 0, -1, s[6:7]
	v_cmp_le_u32_e64 s[6:7], s28, v13
	v_cmp_le_u32_e32 vcc, s29, v11
	v_cndmask_b32_e64 v13, 0, -1, s[6:7]
	v_cmp_eq_u32_e64 s[6:7], s29, v12
	v_cndmask_b32_e64 v22, 0, -1, vcc
	v_cmp_le_u32_e32 vcc, s28, v10
	v_cndmask_b32_e64 v12, v14, v13, s[6:7]
	v_cndmask_b32_e64 v10, 0, -1, vcc
	v_cmp_eq_u32_e32 vcc, s29, v11
	v_add_co_u32_e64 v13, s[6:7], 2, v9
	v_add_co_u32_e64 v14, s[6:7], 1, v9
	v_cndmask_b32_e32 v10, v22, v10, vcc
	v_cmp_ne_u32_e32 vcc, 0, v12
	v_cndmask_b32_e32 v11, v14, v13, vcc
	v_cmp_ne_u32_e32 vcc, 0, v10
	v_cndmask_b32_e32 v9, v9, v11, vcc
	v_xor_b32_e32 v10, s26, v15
	v_xor_b32_e32 v9, v9, v10
	v_sub_co_u32_e32 v10, vcc, v9, v10
                                        ; implicit-def: $vgpr12_vgpr13
.LBB0_36:                               ;   in Loop: Header=BB0_30 Depth=2
	s_andn2_saveexec_b64 s[6:7], s[16:17]
	s_cbranch_execz .LBB0_38
; %bb.37:                               ;   in Loop: Header=BB0_30 Depth=2
	v_rcp_iflag_f32_e32 v9, v21
	s_sub_i32 s16, 0, s35
	v_mul_f32_e32 v9, 0x4f7ffffe, v9
	v_cvt_u32_f32_e32 v9, v9
	v_mul_lo_u32 v10, s16, v9
	v_mul_hi_u32 v10, v9, v10
	v_add_u32_e32 v9, v9, v10
	v_mul_hi_u32 v9, v12, v9
	v_mul_lo_u32 v10, v9, s35
	v_sub_u32_e32 v10, v12, v10
	v_add_u32_e32 v11, 1, v9
	v_subrev_u32_e32 v12, s35, v10
	v_cmp_le_u32_e32 vcc, s35, v10
	v_cndmask_b32_e32 v10, v10, v12, vcc
	v_cndmask_b32_e32 v9, v9, v11, vcc
	v_add_u32_e32 v11, 1, v9
	v_cmp_le_u32_e32 vcc, s35, v10
	v_cndmask_b32_e32 v10, v9, v11, vcc
.LBB0_38:                               ;   in Loop: Header=BB0_30 Depth=2
	s_or_b64 exec, exec, s[6:7]
	v_add_co_u32_e32 v9, vcc, 1, v0
	v_addc_co_u32_e64 v11, s[6:7], 0, 0, vcc
	v_mul_lo_u32 v14, v9, s42
	v_mul_lo_u32 v11, v11, s18
	v_mad_u64_u32 v[12:13], s[6:7], v9, s18, -1
	v_add3_u32 v13, v11, v13, v14
	v_or_b32_e32 v15, s34, v13
	v_mov_b32_e32 v14, v1
	v_cmp_ne_u64_e32 vcc, 0, v[14:15]
                                        ; implicit-def: $vgpr14_vgpr15
	s_and_saveexec_b64 s[6:7], vcc
	s_xor_b64 s[16:17], exec, s[6:7]
	s_cbranch_execz .LBB0_40
; %bb.39:                               ;   in Loop: Header=BB0_30 Depth=2
	s_add_u32 s6, s35, s34
	s_mov_b32 s26, s34
	s_mov_b32 s27, s34
	s_addc_u32 s7, s34, s34
	s_xor_b64 s[28:29], s[6:7], s[26:27]
	v_cvt_f32_u32_e32 v9, s28
	v_cvt_f32_u32_e32 v11, s29
	s_sub_u32 s6, 0, s28
	s_subb_u32 s7, 0, s29
	v_mac_f32_e32 v9, 0x4f800000, v11
	v_rcp_f32_e32 v9, v9
	v_mul_f32_e32 v9, 0x5f7ffffc, v9
	v_mul_f32_e32 v11, 0x2f800000, v9
	v_trunc_f32_e32 v11, v11
	v_mac_f32_e32 v9, 0xcf800000, v11
	v_cvt_u32_f32_e32 v11, v11
	v_cvt_u32_f32_e32 v9, v9
	v_mul_lo_u32 v14, s6, v11
	v_mul_hi_u32 v21, s6, v9
	v_mul_lo_u32 v15, s7, v9
	v_add_u32_e32 v14, v21, v14
	v_mul_lo_u32 v22, s6, v9
	v_add_u32_e32 v14, v14, v15
	v_mul_lo_u32 v21, v9, v14
	v_mul_hi_u32 v23, v9, v22
	v_mul_hi_u32 v15, v9, v14
	v_add_co_u32_e32 v21, vcc, v23, v21
	v_addc_co_u32_e32 v15, vcc, 0, v15, vcc
	v_mul_hi_u32 v24, v11, v22
	v_mul_lo_u32 v22, v11, v22
	v_add_co_u32_e32 v21, vcc, v21, v22
	v_mul_hi_u32 v23, v11, v14
	v_addc_co_u32_e32 v15, vcc, v15, v24, vcc
	v_addc_co_u32_e32 v21, vcc, 0, v23, vcc
	v_mul_lo_u32 v14, v11, v14
	v_add_co_u32_e32 v14, vcc, v15, v14
	v_addc_co_u32_e32 v15, vcc, 0, v21, vcc
	v_add_co_u32_e32 v9, vcc, v9, v14
	v_addc_co_u32_e32 v11, vcc, v11, v15, vcc
	v_mul_lo_u32 v14, s6, v11
	v_mul_hi_u32 v15, s6, v9
	v_add_u32_e32 v14, v15, v14
	v_mul_lo_u32 v15, s7, v9
	v_add_u32_e32 v14, v14, v15
	v_mul_lo_u32 v21, s6, v9
	v_mul_hi_u32 v22, v11, v21
	v_mul_lo_u32 v23, v11, v21
	v_mul_lo_u32 v25, v9, v14
	v_mul_hi_u32 v21, v9, v21
	v_mul_hi_u32 v24, v9, v14
	v_add_co_u32_e32 v21, vcc, v21, v25
	v_addc_co_u32_e32 v24, vcc, 0, v24, vcc
	v_add_co_u32_e32 v21, vcc, v21, v23
	v_mul_hi_u32 v15, v11, v14
	v_addc_co_u32_e32 v21, vcc, v24, v22, vcc
	v_addc_co_u32_e32 v15, vcc, 0, v15, vcc
	v_mul_lo_u32 v14, v11, v14
	v_add_co_u32_e32 v14, vcc, v21, v14
	v_addc_co_u32_e32 v15, vcc, 0, v15, vcc
	v_add_co_u32_e32 v9, vcc, v9, v14
	v_addc_co_u32_e32 v11, vcc, v11, v15, vcc
	v_ashrrev_i32_e32 v21, 31, v13
	v_add_co_u32_e32 v12, vcc, v12, v21
	v_addc_co_u32_e32 v13, vcc, v13, v21, vcc
	v_xor_b32_e32 v23, v12, v21
	v_xor_b32_e32 v22, v13, v21
	v_mad_u64_u32 v[12:13], s[6:7], v23, v11, 0
	v_mul_hi_u32 v14, v23, v9
	v_add_co_u32_e32 v24, vcc, v14, v12
	v_addc_co_u32_e32 v25, vcc, 0, v13, vcc
	v_mad_u64_u32 v[14:15], s[6:7], v22, v9, 0
	v_add_co_u32_e32 v9, vcc, v24, v14
	v_mad_u64_u32 v[12:13], s[6:7], v22, v11, 0
	v_addc_co_u32_e32 v9, vcc, v25, v15, vcc
	v_addc_co_u32_e32 v11, vcc, 0, v13, vcc
	v_add_co_u32_e32 v9, vcc, v9, v12
	v_addc_co_u32_e32 v11, vcc, 0, v11, vcc
	v_mul_lo_u32 v14, s29, v9
	v_mul_lo_u32 v11, s28, v11
	v_mad_u64_u32 v[12:13], s[6:7], s28, v9, 0
	v_add3_u32 v11, v13, v11, v14
	v_sub_u32_e32 v13, v22, v11
	v_mov_b32_e32 v14, s29
	v_sub_co_u32_e32 v12, vcc, v23, v12
	v_subb_co_u32_e64 v13, s[6:7], v13, v14, vcc
	v_subrev_co_u32_e64 v14, s[6:7], s28, v12
	v_subbrev_co_u32_e64 v13, s[6:7], 0, v13, s[6:7]
	v_cmp_le_u32_e64 s[6:7], s29, v13
	v_subb_co_u32_e32 v11, vcc, v22, v11, vcc
	v_cndmask_b32_e64 v15, 0, -1, s[6:7]
	v_cmp_le_u32_e64 s[6:7], s28, v14
	v_cmp_le_u32_e32 vcc, s29, v11
	v_cndmask_b32_e64 v14, 0, -1, s[6:7]
	v_cmp_eq_u32_e64 s[6:7], s29, v13
	v_cndmask_b32_e64 v22, 0, -1, vcc
	v_cmp_le_u32_e32 vcc, s28, v12
	v_cndmask_b32_e64 v13, v15, v14, s[6:7]
	v_cndmask_b32_e64 v12, 0, -1, vcc
	v_cmp_eq_u32_e32 vcc, s29, v11
	v_add_co_u32_e64 v14, s[6:7], 2, v9
	v_add_co_u32_e64 v15, s[6:7], 1, v9
	v_cndmask_b32_e32 v11, v22, v12, vcc
	v_cmp_ne_u32_e32 vcc, 0, v13
	v_cndmask_b32_e32 v12, v15, v14, vcc
	v_cmp_ne_u32_e32 vcc, 0, v11
	v_cndmask_b32_e32 v9, v9, v12, vcc
	v_xor_b32_e32 v11, s26, v21
	v_xor_b32_e32 v9, v9, v11
	v_sub_co_u32_e32 v14, vcc, v9, v11
                                        ; implicit-def: $vgpr21
                                        ; implicit-def: $vgpr12_vgpr13
.LBB0_40:                               ;   in Loop: Header=BB0_30 Depth=2
	s_andn2_saveexec_b64 s[6:7], s[16:17]
	s_cbranch_execz .LBB0_42
; %bb.41:                               ;   in Loop: Header=BB0_30 Depth=2
	v_rcp_iflag_f32_e32 v9, v21
	s_sub_i32 s16, 0, s35
	v_mul_f32_e32 v9, 0x4f7ffffe, v9
	v_cvt_u32_f32_e32 v9, v9
	v_mul_lo_u32 v11, s16, v9
	v_mul_hi_u32 v11, v9, v11
	v_add_u32_e32 v9, v9, v11
	v_mul_hi_u32 v9, v12, v9
	v_mul_lo_u32 v11, v9, s35
	v_sub_u32_e32 v11, v12, v11
	v_add_u32_e32 v13, 1, v9
	v_subrev_u32_e32 v12, s35, v11
	v_cmp_le_u32_e32 vcc, s35, v11
	v_cndmask_b32_e32 v11, v11, v12, vcc
	v_cndmask_b32_e32 v9, v9, v13, vcc
	v_add_u32_e32 v12, 1, v9
	v_cmp_le_u32_e32 vcc, s35, v11
	v_cndmask_b32_e32 v14, v9, v12, vcc
.LBB0_42:                               ;   in Loop: Header=BB0_30 Depth=2
	s_or_b64 exec, exec, s[6:7]
	v_mad_u64_u32 v[10:11], s[6:7], v8, s18, v[10:11]
	v_sub_u32_e32 v8, v14, v10
	v_add_u32_e32 v11, 1, v8
	s_andn2_b64 vcc, exec, s[2:3]
	v_pk_mov_b32 v[8:9], 0, 0
	s_cbranch_vccnz .LBB0_29
; %bb.43:                               ;   in Loop: Header=BB0_30 Depth=2
	s_mov_b32 s45, 0
	v_cmp_lt_i32_e64 s[6:7], 0, v11
	v_pk_mov_b32 v[8:9], 0, 0
	s_branch .LBB0_46
.LBB0_44:                               ;   in Loop: Header=BB0_46 Depth=3
	s_or_b64 exec, exec, s[26:27]
.LBB0_45:                               ;   in Loop: Header=BB0_46 Depth=3
	s_or_b64 exec, exec, s[16:17]
	s_add_i32 s45, s45, 1
	v_cmp_ne_u32_e32 vcc, s45, v18
	s_cbranch_vccz .LBB0_29
.LBB0_46:                               ;   Parent Loop BB0_15 Depth=1
                                        ;     Parent Loop BB0_30 Depth=2
                                        ; =>    This Loop Header: Depth=3
                                        ;         Child Loop BB0_49 Depth 4
                                        ;           Child Loop BB0_51 Depth 5
	s_and_saveexec_b64 s[16:17], s[4:5]
	s_cbranch_execz .LBB0_45
; %bb.47:                               ;   in Loop: Header=BB0_46 Depth=3
	v_add_u32_e32 v12, s45, v2
	v_ashrrev_i32_e32 v13, 31, v12
	v_mul_lo_u32 v14, v12, s15
	v_mul_hi_u32 v15, v12, s14
	v_add_u32_e32 v14, v15, v14
	v_mul_lo_u32 v13, v13, s14
	v_add_u32_e32 v13, v14, v13
	v_mul_lo_u32 v12, v12, s14
	v_lshlrev_b64 v[12:13], 3, v[12:13]
	v_mov_b32_e32 v14, s44
	v_add_co_u32_e32 v12, vcc, s43, v12
	v_addc_co_u32_e32 v13, vcc, v14, v13, vcc
	s_mov_b32 s46, 0
	s_mov_b64 s[26:27], 0
	s_branch .LBB0_49
.LBB0_48:                               ;   in Loop: Header=BB0_49 Depth=4
	s_or_b64 exec, exec, s[28:29]
	s_add_i32 s46, s46, 1
	v_cmp_ge_i32_e32 vcc, s46, v3
	s_or_b64 s[26:27], vcc, s[26:27]
	s_andn2_b64 exec, exec, s[26:27]
	s_cbranch_execz .LBB0_44
.LBB0_49:                               ;   Parent Loop BB0_15 Depth=1
                                        ;     Parent Loop BB0_30 Depth=2
                                        ;       Parent Loop BB0_46 Depth=3
                                        ; =>      This Loop Header: Depth=4
                                        ;           Child Loop BB0_51 Depth 5
	s_and_saveexec_b64 s[28:29], s[6:7]
	s_cbranch_execz .LBB0_48
; %bb.50:                               ;   in Loop: Header=BB0_49 Depth=4
	v_add_u32_e32 v14, s46, v6
	v_ashrrev_i32_e32 v15, 31, v14
	v_mul_lo_u32 v21, v15, s20
	v_mul_lo_u32 v22, v14, s21
	v_mad_u64_u32 v[14:15], s[30:31], v14, s20, 0
	v_add3_u32 v15, v15, v22, v21
	v_lshlrev_b64 v[14:15], 3, v[14:15]
	v_add_co_u32_e32 v14, vcc, v12, v14
	v_addc_co_u32_e32 v15, vcc, v13, v15, vcc
	s_mov_b32 s47, 0
	s_mov_b64 s[30:31], 0
.LBB0_51:                               ;   Parent Loop BB0_15 Depth=1
                                        ;     Parent Loop BB0_30 Depth=2
                                        ;       Parent Loop BB0_46 Depth=3
                                        ;         Parent Loop BB0_49 Depth=4
                                        ; =>        This Inner Loop Header: Depth=5
	v_add_u32_e32 v21, s47, v10
	v_ashrrev_i32_e32 v24, 31, v21
	v_mul_lo_u32 v25, v21, s23
	v_mad_u64_u32 v[22:23], s[48:49], v21, s22, 0
	v_mul_lo_u32 v21, v24, s22
	v_add3_u32 v23, v23, v25, v21
	v_lshlrev_b64 v[22:23], 3, v[22:23]
	v_add_co_u32_e32 v22, vcc, v14, v22
	v_addc_co_u32_e32 v23, vcc, v15, v23, vcc
	global_load_dwordx2 v[22:23], v[22:23], off
	s_add_i32 s47, s47, 1
	v_cmp_ge_i32_e32 vcc, s47, v11
	s_or_b64 s[30:31], vcc, s[30:31]
	s_waitcnt vmcnt(0)
	v_add_f64 v[8:9], v[8:9], v[22:23]
	s_andn2_b64 exec, exec, s[30:31]
	s_cbranch_execnz .LBB0_51
; %bb.52:                               ;   in Loop: Header=BB0_49 Depth=4
	s_or_b64 exec, exec, s[30:31]
	s_branch .LBB0_48
.LBB0_53:
	s_endpgm
.LBB0_54:
                                        ; implicit-def: $sgpr26_sgpr27
	v_cvt_f32_u32_e32 v1, s8
	s_branch .LBB0_2
.LBB0_55:
                                        ; implicit-def: $vgpr2_vgpr3
	s_branch .LBB0_5
.LBB0_56:
                                        ; implicit-def: $vgpr6_vgpr7
	s_load_dword s16, s[4:5], 0x6c
	s_andn2_b64 vcc, exec, s[12:13]
	s_cbranch_vccz .LBB0_8
	s_branch .LBB0_9
.LBB0_57:
                                        ; implicit-def: $sgpr30_sgpr31
	s_load_dword s0, s[4:5], 0x64
	s_branch .LBB0_12
	.section	.rodata,"a",@progbits
	.p2align	6, 0x0
	.amdhsa_kernel _ZN2at6native12_GLOBAL__N_119adaptiveaveragepoolIddEEvPKT_PS3_iiiiiilllllll
		.amdhsa_group_segment_fixed_size 0
		.amdhsa_private_segment_fixed_size 0
		.amdhsa_kernarg_size 352
		.amdhsa_user_sgpr_count 6
		.amdhsa_user_sgpr_private_segment_buffer 1
		.amdhsa_user_sgpr_dispatch_ptr 0
		.amdhsa_user_sgpr_queue_ptr 0
		.amdhsa_user_sgpr_kernarg_segment_ptr 1
		.amdhsa_user_sgpr_dispatch_id 0
		.amdhsa_user_sgpr_flat_scratch_init 0
		.amdhsa_user_sgpr_kernarg_preload_length 0
		.amdhsa_user_sgpr_kernarg_preload_offset 0
		.amdhsa_user_sgpr_private_segment_size 0
		.amdhsa_uses_dynamic_stack 0
		.amdhsa_system_sgpr_private_segment_wavefront_offset 0
		.amdhsa_system_sgpr_workgroup_id_x 1
		.amdhsa_system_sgpr_workgroup_id_y 1
		.amdhsa_system_sgpr_workgroup_id_z 0
		.amdhsa_system_sgpr_workgroup_info 0
		.amdhsa_system_vgpr_workitem_id 1
		.amdhsa_next_free_vgpr 28
		.amdhsa_next_free_sgpr 50
		.amdhsa_accum_offset 28
		.amdhsa_reserve_vcc 1
		.amdhsa_reserve_flat_scratch 0
		.amdhsa_float_round_mode_32 0
		.amdhsa_float_round_mode_16_64 0
		.amdhsa_float_denorm_mode_32 3
		.amdhsa_float_denorm_mode_16_64 3
		.amdhsa_dx10_clamp 1
		.amdhsa_ieee_mode 1
		.amdhsa_fp16_overflow 0
		.amdhsa_tg_split 0
		.amdhsa_exception_fp_ieee_invalid_op 0
		.amdhsa_exception_fp_denorm_src 0
		.amdhsa_exception_fp_ieee_div_zero 0
		.amdhsa_exception_fp_ieee_overflow 0
		.amdhsa_exception_fp_ieee_underflow 0
		.amdhsa_exception_fp_ieee_inexact 0
		.amdhsa_exception_int_div_zero 0
	.end_amdhsa_kernel
	.section	.text._ZN2at6native12_GLOBAL__N_119adaptiveaveragepoolIddEEvPKT_PS3_iiiiiilllllll,"axG",@progbits,_ZN2at6native12_GLOBAL__N_119adaptiveaveragepoolIddEEvPKT_PS3_iiiiiilllllll,comdat
.Lfunc_end0:
	.size	_ZN2at6native12_GLOBAL__N_119adaptiveaveragepoolIddEEvPKT_PS3_iiiiiilllllll, .Lfunc_end0-_ZN2at6native12_GLOBAL__N_119adaptiveaveragepoolIddEEvPKT_PS3_iiiiiilllllll
                                        ; -- End function
	.section	.AMDGPU.csdata,"",@progbits
; Kernel info:
; codeLenInByte = 8136
; NumSgprs: 54
; NumVgprs: 28
; NumAgprs: 0
; TotalNumVgprs: 28
; ScratchSize: 0
; MemoryBound: 0
; FloatMode: 240
; IeeeMode: 1
; LDSByteSize: 0 bytes/workgroup (compile time only)
; SGPRBlocks: 6
; VGPRBlocks: 3
; NumSGPRsForWavesPerEU: 54
; NumVGPRsForWavesPerEU: 28
; AccumOffset: 28
; Occupancy: 8
; WaveLimiterHint : 0
; COMPUTE_PGM_RSRC2:SCRATCH_EN: 0
; COMPUTE_PGM_RSRC2:USER_SGPR: 6
; COMPUTE_PGM_RSRC2:TRAP_HANDLER: 0
; COMPUTE_PGM_RSRC2:TGID_X_EN: 1
; COMPUTE_PGM_RSRC2:TGID_Y_EN: 1
; COMPUTE_PGM_RSRC2:TGID_Z_EN: 0
; COMPUTE_PGM_RSRC2:TIDIG_COMP_CNT: 1
; COMPUTE_PGM_RSRC3_GFX90A:ACCUM_OFFSET: 6
; COMPUTE_PGM_RSRC3_GFX90A:TG_SPLIT: 0
	.section	.text._ZN2at6native12_GLOBAL__N_119adaptiveaveragepoolIffEEvPKT_PS3_iiiiiilllllll,"axG",@progbits,_ZN2at6native12_GLOBAL__N_119adaptiveaveragepoolIffEEvPKT_PS3_iiiiiilllllll,comdat
	.globl	_ZN2at6native12_GLOBAL__N_119adaptiveaveragepoolIffEEvPKT_PS3_iiiiiilllllll ; -- Begin function _ZN2at6native12_GLOBAL__N_119adaptiveaveragepoolIffEEvPKT_PS3_iiiiiilllllll
	.p2align	8
	.type	_ZN2at6native12_GLOBAL__N_119adaptiveaveragepoolIffEEvPKT_PS3_iiiiiilllllll,@function
_ZN2at6native12_GLOBAL__N_119adaptiveaveragepoolIffEEvPKT_PS3_iiiiiilllllll: ; @_ZN2at6native12_GLOBAL__N_119adaptiveaveragepoolIffEEvPKT_PS3_iiiiiilllllll
; %bb.0:
	s_load_dwordx2 s[0:1], s[4:5], 0x58
	s_load_dwordx4 s[16:19], s[4:5], 0x10
	s_load_dwordx2 s[24:25], s[4:5], 0x20
	s_mov_b32 s10, 0
	s_waitcnt lgkmcnt(0)
	s_add_u32 s2, s6, s0
	s_addc_u32 s3, 0, s1
	s_ashr_i32 s9, s19, 31
	s_mov_b32 s8, s19
	s_or_b64 s[0:1], s[2:3], s[8:9]
	s_mov_b32 s11, s1
	s_cmp_lg_u64 s[10:11], 0
	s_cbranch_scc0 .LBB1_54
; %bb.1:
	s_add_u32 s0, s8, s9
	s_mov_b32 s12, s9
	s_mov_b32 s13, s9
	s_addc_u32 s1, s9, s9
	s_xor_b64 s[14:15], s[0:1], s[12:13]
	v_cvt_f32_u32_e32 v1, s14
	v_cvt_f32_u32_e32 v2, s15
	s_sub_u32 s0, 0, s14
	s_subb_u32 s1, 0, s15
	v_madmk_f32 v1, v2, 0x4f800000, v1
	v_rcp_f32_e32 v1, v1
	v_mul_f32_e32 v1, 0x5f7ffffc, v1
	v_mul_f32_e32 v2, 0x2f800000, v1
	v_trunc_f32_e32 v2, v2
	v_madmk_f32 v1, v2, 0xcf800000, v1
	v_cvt_u32_f32_e32 v2, v2
	v_cvt_u32_f32_e32 v1, v1
	v_readfirstlane_b32 s6, v2
	v_readfirstlane_b32 s19, v1
	s_mul_i32 s20, s0, s6
	s_mul_hi_u32 s22, s0, s19
	s_mul_i32 s21, s1, s19
	s_add_i32 s20, s22, s20
	s_add_i32 s20, s20, s21
	s_mul_i32 s23, s0, s19
	s_mul_hi_u32 s21, s19, s20
	s_mul_i32 s22, s19, s20
	s_mul_hi_u32 s19, s19, s23
	s_add_u32 s19, s19, s22
	s_addc_u32 s21, 0, s21
	s_mul_hi_u32 s26, s6, s23
	s_mul_i32 s23, s6, s23
	s_add_u32 s19, s19, s23
	s_mul_hi_u32 s22, s6, s20
	s_addc_u32 s19, s21, s26
	s_addc_u32 s21, s22, 0
	s_mul_i32 s20, s6, s20
	s_add_u32 s19, s19, s20
	s_addc_u32 s20, 0, s21
	v_add_co_u32_e32 v1, vcc, s19, v1
	s_cmp_lg_u64 vcc, 0
	s_addc_u32 s6, s6, s20
	v_readfirstlane_b32 s20, v1
	s_mul_i32 s19, s0, s6
	s_mul_hi_u32 s21, s0, s20
	s_add_i32 s19, s21, s19
	s_mul_i32 s1, s1, s20
	s_add_i32 s19, s19, s1
	s_mul_i32 s0, s0, s20
	s_mul_hi_u32 s21, s6, s0
	s_mul_i32 s22, s6, s0
	s_mul_i32 s26, s20, s19
	s_mul_hi_u32 s0, s20, s0
	s_mul_hi_u32 s23, s20, s19
	s_add_u32 s0, s0, s26
	s_addc_u32 s20, 0, s23
	s_add_u32 s0, s0, s22
	s_mul_hi_u32 s1, s6, s19
	s_addc_u32 s0, s20, s21
	s_addc_u32 s1, s1, 0
	s_mul_i32 s19, s6, s19
	s_add_u32 s0, s0, s19
	s_addc_u32 s1, 0, s1
	v_add_co_u32_e32 v1, vcc, s0, v1
	s_cmp_lg_u64 vcc, 0
	s_addc_u32 s6, s6, s1
	s_ashr_i32 s20, s3, 31
	s_add_u32 s0, s2, s20
	s_mov_b32 s21, s20
	s_addc_u32 s1, s3, s20
	s_xor_b64 s[22:23], s[0:1], s[20:21]
	v_readfirstlane_b32 s19, v1
	s_mul_i32 s1, s22, s6
	s_mul_hi_u32 s26, s22, s19
	s_mul_hi_u32 s0, s22, s6
	s_add_u32 s1, s26, s1
	s_addc_u32 s0, 0, s0
	s_mul_hi_u32 s27, s23, s19
	s_mul_i32 s19, s23, s19
	s_add_u32 s1, s1, s19
	s_mul_hi_u32 s26, s23, s6
	s_addc_u32 s0, s0, s27
	s_addc_u32 s1, s26, 0
	s_mul_i32 s6, s23, s6
	s_add_u32 s6, s0, s6
	s_addc_u32 s19, 0, s1
	s_mul_i32 s0, s14, s19
	s_mul_hi_u32 s1, s14, s6
	s_add_i32 s0, s1, s0
	s_mul_i32 s1, s15, s6
	s_add_i32 s26, s0, s1
	s_mul_i32 s1, s14, s6
	v_mov_b32_e32 v1, s1
	s_sub_i32 s0, s23, s26
	v_sub_co_u32_e32 v1, vcc, s22, v1
	s_cmp_lg_u64 vcc, 0
	s_subb_u32 s22, s0, s15
	v_subrev_co_u32_e64 v2, s[0:1], s14, v1
	s_cmp_lg_u64 s[0:1], 0
	s_subb_u32 s0, s22, 0
	s_cmp_ge_u32 s0, s15
	v_readfirstlane_b32 s22, v2
	s_cselect_b32 s1, -1, 0
	s_cmp_ge_u32 s22, s14
	s_cselect_b32 s22, -1, 0
	s_cmp_eq_u32 s0, s15
	s_cselect_b32 s0, s22, s1
	s_add_u32 s1, s6, 1
	s_addc_u32 s22, s19, 0
	s_add_u32 s27, s6, 2
	s_addc_u32 s28, s19, 0
	s_cmp_lg_u32 s0, 0
	s_cselect_b32 s0, s27, s1
	s_cselect_b32 s1, s28, s22
	s_cmp_lg_u64 vcc, 0
	s_subb_u32 s22, s23, s26
	s_cmp_ge_u32 s22, s15
	v_readfirstlane_b32 s26, v1
	s_cselect_b32 s23, -1, 0
	s_cmp_ge_u32 s26, s14
	s_cselect_b32 s14, -1, 0
	s_cmp_eq_u32 s22, s15
	s_cselect_b32 s14, s14, s23
	s_cmp_lg_u32 s14, 0
	s_cselect_b32 s1, s1, s19
	s_cselect_b32 s0, s0, s6
	s_xor_b64 s[12:13], s[20:21], s[12:13]
	s_xor_b64 s[0:1], s[0:1], s[12:13]
	s_sub_u32 s26, s0, s12
	s_subb_u32 s27, s1, s13
	v_cvt_f32_u32_e32 v1, s8
	s_cbranch_execnz .LBB1_3
.LBB1_2:
	v_rcp_iflag_f32_e32 v2, v1
	s_sub_i32 s0, 0, s8
	s_mov_b32 s27, 0
	v_mul_f32_e32 v2, 0x4f7ffffe, v2
	v_cvt_u32_f32_e32 v2, v2
	v_readfirstlane_b32 s1, v2
	s_mul_i32 s0, s0, s1
	s_mul_hi_u32 s0, s1, s0
	s_add_i32 s1, s1, s0
	s_mul_hi_u32 s0, s2, s1
	s_mul_i32 s6, s0, s8
	s_sub_i32 s6, s2, s6
	s_add_i32 s1, s0, 1
	s_sub_i32 s10, s6, s8
	s_cmp_ge_u32 s6, s8
	s_cselect_b32 s0, s1, s0
	s_cselect_b32 s6, s10, s6
	s_add_i32 s1, s0, 1
	s_cmp_ge_u32 s6, s8
	s_cselect_b32 s26, s1, s0
.LBB1_3:
	s_mul_i32 s0, s26, s9
	s_mul_hi_u32 s1, s26, s8
	s_add_i32 s0, s1, s0
	s_mul_i32 s1, s27, s8
	s_add_i32 s0, s0, s1
	s_mul_i32 s1, s26, s8
	s_sub_u32 s1, s2, s1
	s_subb_u32 s0, s3, s0
	s_ashr_i32 s6, s16, 31
	s_mul_i32 s10, s1, s6
	s_mul_hi_u32 s11, s1, s16
	s_add_i32 s10, s11, s10
	s_mul_i32 s0, s0, s16
	s_add_i32 s11, s10, s0
	s_mul_i32 s10, s1, s16
	s_or_b64 s[0:1], s[10:11], s[8:9]
	s_mov_b32 s0, 0
	s_cmp_lg_u64 s[0:1], 0
	s_cbranch_scc0 .LBB1_55
; %bb.4:
	s_add_u32 s0, s8, s9
	s_mov_b32 s12, s9
	s_mov_b32 s13, s9
	s_addc_u32 s1, s9, s9
	s_xor_b64 s[20:21], s[0:1], s[12:13]
	v_cvt_f32_u32_e32 v2, s20
	v_cvt_f32_u32_e32 v3, s21
	s_sub_u32 s0, 0, s20
	s_subb_u32 s1, 0, s21
	v_madmk_f32 v2, v3, 0x4f800000, v2
	v_rcp_f32_e32 v2, v2
	v_mul_f32_e32 v2, 0x5f7ffffc, v2
	v_mul_f32_e32 v3, 0x2f800000, v2
	v_trunc_f32_e32 v3, v3
	v_madmk_f32 v2, v3, 0xcf800000, v2
	v_cvt_u32_f32_e32 v3, v3
	v_cvt_u32_f32_e32 v2, v2
	v_readfirstlane_b32 s19, v3
	v_readfirstlane_b32 s22, v2
	s_mul_i32 s23, s0, s19
	s_mul_hi_u32 s29, s0, s22
	s_mul_i32 s28, s1, s22
	s_add_i32 s23, s29, s23
	s_add_i32 s23, s23, s28
	s_mul_i32 s30, s0, s22
	s_mul_hi_u32 s28, s22, s23
	s_mul_i32 s29, s22, s23
	s_mul_hi_u32 s22, s22, s30
	s_add_u32 s22, s22, s29
	s_addc_u32 s28, 0, s28
	s_mul_hi_u32 s31, s19, s30
	s_mul_i32 s30, s19, s30
	s_add_u32 s22, s22, s30
	s_mul_hi_u32 s29, s19, s23
	s_addc_u32 s22, s28, s31
	s_addc_u32 s28, s29, 0
	s_mul_i32 s23, s19, s23
	s_add_u32 s22, s22, s23
	s_addc_u32 s23, 0, s28
	v_add_co_u32_e32 v2, vcc, s22, v2
	s_cmp_lg_u64 vcc, 0
	s_addc_u32 s19, s19, s23
	v_readfirstlane_b32 s23, v2
	s_mul_i32 s22, s0, s19
	s_mul_hi_u32 s28, s0, s23
	s_add_i32 s22, s28, s22
	s_mul_i32 s1, s1, s23
	s_add_i32 s22, s22, s1
	s_mul_i32 s0, s0, s23
	s_mul_hi_u32 s28, s19, s0
	s_mul_i32 s29, s19, s0
	s_mul_i32 s31, s23, s22
	s_mul_hi_u32 s0, s23, s0
	s_mul_hi_u32 s30, s23, s22
	s_add_u32 s0, s0, s31
	s_addc_u32 s23, 0, s30
	s_add_u32 s0, s0, s29
	s_mul_hi_u32 s1, s19, s22
	s_addc_u32 s0, s23, s28
	s_addc_u32 s1, s1, 0
	s_mul_i32 s22, s19, s22
	s_add_u32 s0, s0, s22
	s_addc_u32 s1, 0, s1
	v_add_co_u32_e32 v2, vcc, s0, v2
	s_cmp_lg_u64 vcc, 0
	s_addc_u32 s19, s19, s1
	s_ashr_i32 s22, s11, 31
	s_add_u32 s0, s10, s22
	s_mov_b32 s23, s22
	s_addc_u32 s1, s11, s22
	s_xor_b64 s[28:29], s[0:1], s[22:23]
	v_readfirstlane_b32 s30, v2
	s_mul_i32 s1, s28, s19
	s_mul_hi_u32 s31, s28, s30
	s_mul_hi_u32 s0, s28, s19
	s_add_u32 s1, s31, s1
	s_addc_u32 s0, 0, s0
	s_mul_hi_u32 s33, s29, s30
	s_mul_i32 s30, s29, s30
	s_add_u32 s1, s1, s30
	s_mul_hi_u32 s31, s29, s19
	s_addc_u32 s0, s0, s33
	s_addc_u32 s1, s31, 0
	s_mul_i32 s19, s29, s19
	s_add_u32 s19, s0, s19
	s_addc_u32 s0, 0, s1
	s_mul_i32 s0, s20, s0
	s_mul_hi_u32 s1, s20, s19
	s_add_i32 s0, s1, s0
	s_mul_i32 s1, s21, s19
	s_add_i32 s30, s0, s1
	s_mul_i32 s1, s20, s19
	v_mov_b32_e32 v2, s1
	s_sub_i32 s0, s29, s30
	v_sub_co_u32_e32 v2, vcc, s28, v2
	s_cmp_lg_u64 vcc, 0
	s_subb_u32 s28, s0, s21
	v_subrev_co_u32_e64 v3, s[0:1], s20, v2
	s_cmp_lg_u64 s[0:1], 0
	s_subb_u32 s28, s28, 0
	s_cmp_ge_u32 s28, s21
	s_cselect_b32 s31, -1, 0
	v_cmp_le_u32_e64 s[0:1], s20, v3
	s_cmp_eq_u32 s28, s21
	v_cndmask_b32_e64 v3, 0, -1, s[0:1]
	v_mov_b32_e32 v4, s31
	s_cselect_b64 s[0:1], -1, 0
	v_cndmask_b32_e64 v3, v4, v3, s[0:1]
	s_add_u32 s0, s19, 1
	s_add_u32 s1, s19, 2
	v_mov_b32_e32 v4, s0
	v_mov_b32_e32 v5, s1
	v_cmp_ne_u32_e64 s[0:1], 0, v3
	s_cmp_lg_u64 vcc, 0
	v_cndmask_b32_e64 v3, v4, v5, s[0:1]
	s_subb_u32 s0, s29, s30
	s_cmp_ge_u32 s0, s21
	s_cselect_b32 s1, -1, 0
	v_cmp_le_u32_e32 vcc, s20, v2
	s_cmp_eq_u32 s0, s21
	v_cndmask_b32_e64 v2, 0, -1, vcc
	v_mov_b32_e32 v4, s1
	s_cselect_b64 vcc, -1, 0
	v_cndmask_b32_e32 v2, v4, v2, vcc
	v_mov_b32_e32 v4, s19
	v_cmp_ne_u32_e32 vcc, 0, v2
	v_cndmask_b32_e32 v2, v4, v3, vcc
	s_xor_b64 s[0:1], s[22:23], s[12:13]
	v_xor_b32_e32 v2, s0, v2
	v_subrev_co_u32_e32 v2, vcc, s0, v2
	s_cbranch_execnz .LBB1_6
.LBB1_5:
	v_rcp_iflag_f32_e32 v2, v1
	s_sub_i32 s0, 0, s8
	v_mul_f32_e32 v2, 0x4f7ffffe, v2
	v_cvt_u32_f32_e32 v2, v2
	v_mul_lo_u32 v3, s0, v2
	v_mul_hi_u32 v3, v2, v3
	v_add_u32_e32 v2, v2, v3
	v_mul_hi_u32 v2, s10, v2
	v_mul_lo_u32 v4, v2, s8
	v_sub_u32_e32 v4, s10, v4
	v_add_u32_e32 v3, 1, v2
	v_subrev_u32_e32 v5, s8, v4
	v_cmp_le_u32_e32 vcc, s8, v4
	v_cndmask_b32_e32 v4, v4, v5, vcc
	v_cndmask_b32_e32 v2, v2, v3, vcc
	v_add_u32_e32 v3, 1, v2
	v_cmp_le_u32_e32 vcc, s8, v4
	v_cndmask_b32_e32 v2, v2, v3, vcc
.LBB1_6:
	s_add_u32 s0, s10, s16
	s_addc_u32 s1, s11, s6
	s_add_u32 s10, s0, -1
	s_addc_u32 s11, s1, -1
	s_or_b64 s[0:1], s[10:11], s[8:9]
	s_mov_b32 s0, 0
	s_cmp_lg_u64 s[0:1], 0
	s_mov_b64 s[12:13], -1
	s_cbranch_scc0 .LBB1_56
; %bb.7:
	s_add_u32 s0, s8, s9
	s_mov_b32 s14, s9
	s_mov_b32 s15, s9
	s_addc_u32 s1, s9, s9
	s_xor_b64 s[20:21], s[0:1], s[14:15]
	v_cvt_f32_u32_e32 v3, s20
	v_cvt_f32_u32_e32 v4, s21
	s_sub_u32 s0, 0, s20
	s_subb_u32 s1, 0, s21
	v_madmk_f32 v3, v4, 0x4f800000, v3
	v_rcp_f32_e32 v3, v3
	v_mul_f32_e32 v3, 0x5f7ffffc, v3
	v_mul_f32_e32 v4, 0x2f800000, v3
	v_trunc_f32_e32 v4, v4
	v_madmk_f32 v3, v4, 0xcf800000, v3
	v_cvt_u32_f32_e32 v4, v4
	v_cvt_u32_f32_e32 v3, v3
	v_readfirstlane_b32 s6, v4
	v_readfirstlane_b32 s9, v3
	s_mul_i32 s16, s0, s6
	s_mul_hi_u32 s22, s0, s9
	s_mul_i32 s19, s1, s9
	s_add_i32 s16, s22, s16
	s_add_i32 s16, s16, s19
	s_mul_i32 s23, s0, s9
	s_mul_hi_u32 s19, s9, s16
	s_mul_i32 s22, s9, s16
	s_mul_hi_u32 s9, s9, s23
	s_add_u32 s9, s9, s22
	s_addc_u32 s19, 0, s19
	s_mul_hi_u32 s28, s6, s23
	s_mul_i32 s23, s6, s23
	s_add_u32 s9, s9, s23
	s_mul_hi_u32 s22, s6, s16
	s_addc_u32 s9, s19, s28
	s_addc_u32 s19, s22, 0
	s_mul_i32 s16, s6, s16
	s_add_u32 s9, s9, s16
	s_addc_u32 s16, 0, s19
	v_add_co_u32_e32 v3, vcc, s9, v3
	s_cmp_lg_u64 vcc, 0
	s_addc_u32 s6, s6, s16
	v_readfirstlane_b32 s16, v3
	s_mul_i32 s9, s0, s6
	s_mul_hi_u32 s19, s0, s16
	s_add_i32 s9, s19, s9
	s_mul_i32 s1, s1, s16
	s_add_i32 s9, s9, s1
	s_mul_i32 s0, s0, s16
	s_mul_hi_u32 s19, s6, s0
	s_mul_i32 s22, s6, s0
	s_mul_i32 s28, s16, s9
	s_mul_hi_u32 s0, s16, s0
	s_mul_hi_u32 s23, s16, s9
	s_add_u32 s0, s0, s28
	s_addc_u32 s16, 0, s23
	s_add_u32 s0, s0, s22
	s_mul_hi_u32 s1, s6, s9
	s_addc_u32 s0, s16, s19
	s_addc_u32 s1, s1, 0
	s_mul_i32 s9, s6, s9
	s_add_u32 s0, s0, s9
	s_addc_u32 s1, 0, s1
	v_add_co_u32_e32 v3, vcc, s0, v3
	s_cmp_lg_u64 vcc, 0
	s_addc_u32 s6, s6, s1
	s_ashr_i32 s22, s11, 31
	s_add_u32 s0, s10, s22
	s_mov_b32 s23, s22
	s_addc_u32 s1, s11, s22
	s_xor_b64 s[28:29], s[0:1], s[22:23]
	v_readfirstlane_b32 s9, v3
	s_mul_i32 s1, s28, s6
	s_mul_hi_u32 s11, s28, s9
	s_mul_hi_u32 s0, s28, s6
	s_add_u32 s1, s11, s1
	s_addc_u32 s0, 0, s0
	s_mul_hi_u32 s16, s29, s9
	s_mul_i32 s9, s29, s9
	s_add_u32 s1, s1, s9
	s_mul_hi_u32 s11, s29, s6
	s_addc_u32 s0, s0, s16
	s_addc_u32 s1, s11, 0
	s_mul_i32 s6, s29, s6
	s_add_u32 s6, s0, s6
	s_addc_u32 s0, 0, s1
	s_mul_i32 s0, s20, s0
	s_mul_hi_u32 s1, s20, s6
	s_add_i32 s0, s1, s0
	s_mul_i32 s1, s21, s6
	s_add_i32 s9, s0, s1
	s_mul_i32 s1, s20, s6
	v_mov_b32_e32 v3, s1
	s_sub_i32 s0, s29, s9
	v_sub_co_u32_e32 v3, vcc, s28, v3
	s_cmp_lg_u64 vcc, 0
	s_subb_u32 s11, s0, s21
	v_subrev_co_u32_e64 v4, s[0:1], s20, v3
	s_cmp_lg_u64 s[0:1], 0
	s_subb_u32 s11, s11, 0
	s_cmp_ge_u32 s11, s21
	s_cselect_b32 s16, -1, 0
	v_cmp_le_u32_e64 s[0:1], s20, v4
	s_cmp_eq_u32 s11, s21
	v_cndmask_b32_e64 v4, 0, -1, s[0:1]
	v_mov_b32_e32 v5, s16
	s_cselect_b64 s[0:1], -1, 0
	v_cndmask_b32_e64 v4, v5, v4, s[0:1]
	s_add_u32 s0, s6, 1
	s_add_u32 s1, s6, 2
	v_mov_b32_e32 v5, s0
	v_mov_b32_e32 v6, s1
	v_cmp_ne_u32_e64 s[0:1], 0, v4
	s_cmp_lg_u64 vcc, 0
	v_cndmask_b32_e64 v4, v5, v6, s[0:1]
	s_subb_u32 s0, s29, s9
	s_cmp_ge_u32 s0, s21
	s_cselect_b32 s1, -1, 0
	v_cmp_le_u32_e32 vcc, s20, v3
	s_cmp_eq_u32 s0, s21
	v_cndmask_b32_e64 v3, 0, -1, vcc
	v_mov_b32_e32 v5, s1
	s_cselect_b64 vcc, -1, 0
	v_cndmask_b32_e32 v3, v5, v3, vcc
	v_mov_b32_e32 v5, s6
	v_cmp_ne_u32_e32 vcc, 0, v3
	v_cndmask_b32_e32 v3, v5, v4, vcc
	s_xor_b64 s[0:1], s[22:23], s[14:15]
	v_xor_b32_e32 v3, s0, v3
	v_subrev_co_u32_e32 v6, vcc, s0, v3
	s_load_dword s16, s[4:5], 0x6c
	s_cbranch_execnz .LBB1_9
.LBB1_8:
	v_rcp_iflag_f32_e32 v1, v1
	s_sub_i32 s0, 0, s8
	v_mul_f32_e32 v1, 0x4f7ffffe, v1
	v_cvt_u32_f32_e32 v1, v1
	v_mul_lo_u32 v3, s0, v1
	v_mul_hi_u32 v3, v1, v3
	v_add_u32_e32 v1, v1, v3
	v_mul_hi_u32 v1, s10, v1
	v_mul_lo_u32 v4, v1, s8
	v_sub_u32_e32 v4, s10, v4
	v_add_u32_e32 v3, 1, v1
	v_subrev_u32_e32 v5, s8, v4
	v_cmp_le_u32_e32 vcc, s8, v4
	v_cndmask_b32_e32 v4, v4, v5, vcc
	v_cndmask_b32_e32 v1, v1, v3, vcc
	v_add_u32_e32 v3, 1, v1
	v_cmp_le_u32_e32 vcc, s8, v4
	v_cndmask_b32_e32 v6, v1, v3, vcc
.LBB1_9:
	s_waitcnt lgkmcnt(0)
	s_lshr_b32 s38, s16, 16
	s_mul_i32 s7, s7, s38
	v_bfe_u32 v1, v0, 10, 10
	v_add_u32_e32 v4, s7, v1
	v_cmp_gt_i32_e32 vcc, s24, v4
	s_and_saveexec_b64 s[0:1], vcc
	s_cbranch_execz .LBB1_53
; %bb.10:
	s_load_dwordx8 s[8:15], s[4:5], 0x28
	s_load_dwordx4 s[20:23], s[4:5], 0x48
	s_bfe_i64 s[28:29], s[26:27], 0x200000
	s_mov_b32 s0, 0
	s_waitcnt lgkmcnt(0)
	s_or_b64 s[6:7], s[28:29], s[8:9]
	s_mov_b32 s1, s7
	s_cmp_lg_u64 s[0:1], 0
	s_cbranch_scc0 .LBB1_57
; %bb.11:
	s_ashr_i32 s30, s9, 31
	s_add_u32 s0, s8, s30
	s_mov_b32 s31, s30
	s_addc_u32 s1, s9, s30
	s_xor_b64 s[34:35], s[0:1], s[30:31]
	v_cvt_f32_u32_e32 v1, s34
	v_cvt_f32_u32_e32 v3, s35
	s_sub_u32 s0, 0, s34
	s_subb_u32 s1, 0, s35
	v_madmk_f32 v1, v3, 0x4f800000, v1
	v_rcp_f32_e32 v1, v1
	v_mul_f32_e32 v1, 0x5f7ffffc, v1
	v_mul_f32_e32 v3, 0x2f800000, v1
	v_trunc_f32_e32 v3, v3
	v_madmk_f32 v1, v3, 0xcf800000, v1
	v_cvt_u32_f32_e32 v3, v3
	v_cvt_u32_f32_e32 v1, v1
	v_readfirstlane_b32 s19, v3
	v_readfirstlane_b32 s27, v1
	s_mul_i32 s33, s0, s19
	s_mul_hi_u32 s37, s0, s27
	s_mul_i32 s36, s1, s27
	s_add_i32 s33, s37, s33
	s_add_i32 s33, s33, s36
	s_mul_i32 s39, s0, s27
	s_mul_hi_u32 s36, s27, s33
	s_mul_i32 s37, s27, s33
	s_mul_hi_u32 s27, s27, s39
	s_add_u32 s27, s27, s37
	s_addc_u32 s36, 0, s36
	s_mul_hi_u32 s40, s19, s39
	s_mul_i32 s39, s19, s39
	s_add_u32 s27, s27, s39
	s_mul_hi_u32 s37, s19, s33
	s_addc_u32 s27, s36, s40
	s_addc_u32 s36, s37, 0
	s_mul_i32 s33, s19, s33
	s_add_u32 s27, s27, s33
	s_addc_u32 s33, 0, s36
	v_add_co_u32_e32 v1, vcc, s27, v1
	s_cmp_lg_u64 vcc, 0
	s_addc_u32 s19, s19, s33
	v_readfirstlane_b32 s33, v1
	s_mul_i32 s27, s0, s19
	s_mul_hi_u32 s36, s0, s33
	s_add_i32 s27, s36, s27
	s_mul_i32 s1, s1, s33
	s_add_i32 s27, s27, s1
	s_mul_i32 s0, s0, s33
	s_mul_hi_u32 s36, s19, s0
	s_mul_i32 s37, s19, s0
	s_mul_i32 s40, s33, s27
	s_mul_hi_u32 s0, s33, s0
	s_mul_hi_u32 s39, s33, s27
	s_add_u32 s0, s0, s40
	s_addc_u32 s33, 0, s39
	s_add_u32 s0, s0, s37
	s_mul_hi_u32 s1, s19, s27
	s_addc_u32 s0, s33, s36
	s_addc_u32 s1, s1, 0
	s_mul_i32 s27, s19, s27
	s_add_u32 s0, s0, s27
	s_addc_u32 s1, 0, s1
	v_add_co_u32_e32 v1, vcc, s0, v1
	s_cmp_lg_u64 vcc, 0
	s_addc_u32 s19, s19, s1
	s_add_u32 s0, s28, s29
	s_mov_b32 s36, s29
	s_mov_b32 s37, s29
	s_addc_u32 s1, s29, s29
	s_xor_b64 s[40:41], s[0:1], s[36:37]
	v_readfirstlane_b32 s27, v1
	s_mul_i32 s1, s40, s19
	s_mul_hi_u32 s33, s40, s27
	s_mul_hi_u32 s0, s40, s19
	s_add_u32 s1, s33, s1
	s_addc_u32 s0, 0, s0
	s_mul_hi_u32 s39, s41, s27
	s_mul_i32 s27, s41, s27
	s_add_u32 s1, s1, s27
	s_mul_hi_u32 s33, s41, s19
	s_addc_u32 s0, s0, s39
	s_addc_u32 s1, s33, 0
	s_mul_i32 s19, s41, s19
	s_add_u32 s19, s0, s19
	s_addc_u32 s27, 0, s1
	s_mul_i32 s0, s34, s27
	s_mul_hi_u32 s1, s34, s19
	s_add_i32 s0, s1, s0
	s_mul_i32 s1, s35, s19
	s_add_i32 s33, s0, s1
	s_mul_i32 s1, s34, s19
	v_mov_b32_e32 v1, s1
	s_sub_i32 s0, s41, s33
	v_sub_co_u32_e32 v1, vcc, s40, v1
	s_cmp_lg_u64 vcc, 0
	s_subb_u32 s39, s0, s35
	v_subrev_co_u32_e64 v3, s[0:1], s34, v1
	s_cmp_lg_u64 s[0:1], 0
	s_subb_u32 s0, s39, 0
	s_cmp_ge_u32 s0, s35
	v_readfirstlane_b32 s39, v3
	s_cselect_b32 s1, -1, 0
	s_cmp_ge_u32 s39, s34
	s_cselect_b32 s39, -1, 0
	s_cmp_eq_u32 s0, s35
	s_cselect_b32 s0, s39, s1
	s_add_u32 s1, s19, 1
	s_addc_u32 s39, s27, 0
	s_add_u32 s40, s19, 2
	s_addc_u32 s42, s27, 0
	s_cmp_lg_u32 s0, 0
	s_cselect_b32 s0, s40, s1
	s_cselect_b32 s1, s42, s39
	s_cmp_lg_u64 vcc, 0
	s_subb_u32 s33, s41, s33
	s_cmp_ge_u32 s33, s35
	v_readfirstlane_b32 s40, v1
	s_cselect_b32 s39, -1, 0
	s_cmp_ge_u32 s40, s34
	s_cselect_b32 s34, -1, 0
	s_cmp_eq_u32 s33, s35
	s_cselect_b32 s33, s34, s39
	s_cmp_lg_u32 s33, 0
	s_cselect_b32 s1, s1, s27
	s_cselect_b32 s0, s0, s19
	s_xor_b64 s[30:31], s[36:37], s[30:31]
	s_xor_b64 s[0:1], s[0:1], s[30:31]
	s_sub_u32 s30, s0, s30
	s_subb_u32 s31, s1, s31
	s_load_dword s0, s[4:5], 0x64
	s_cbranch_execnz .LBB1_13
.LBB1_12:
	v_cvt_f32_u32_e32 v1, s8
	s_sub_i32 s6, 0, s8
	s_mov_b32 s31, 0
	v_rcp_iflag_f32_e32 v1, v1
	v_mul_f32_e32 v1, 0x4f7ffffe, v1
	v_cvt_u32_f32_e32 v1, v1
	v_readfirstlane_b32 s7, v1
	s_mul_i32 s6, s6, s7
	s_mul_hi_u32 s6, s7, s6
	s_add_i32 s7, s7, s6
	s_mul_hi_u32 s6, s26, s7
	s_mul_i32 s19, s6, s8
	s_sub_i32 s1, s26, s19
	s_add_i32 s7, s6, 1
	s_sub_i32 s19, s1, s8
	s_cmp_ge_u32 s1, s8
	s_cselect_b32 s6, s7, s6
	s_cselect_b32 s1, s19, s1
	s_add_i32 s7, s6, 1
	s_cmp_ge_u32 s1, s8
	s_cselect_b32 s30, s7, s6
.LBB1_13:
	s_load_dwordx4 s[4:7], s[4:5], 0x0
	s_mul_i32 s26, s25, s24
	s_mul_hi_i32 s1, s25, s24
	s_mul_i32 s3, s26, s3
	s_mul_hi_u32 s27, s26, s2
	s_add_i32 s3, s27, s3
	s_mul_i32 s1, s1, s2
	s_add_i32 s3, s3, s1
	s_mul_i32 s2, s26, s2
	s_ashr_i32 s19, s24, 31
	s_ashr_i32 s34, s25, 31
	s_lshl_b64 s[2:3], s[2:3], 2
	s_mov_b32 s33, s24
	s_waitcnt lgkmcnt(0)
	s_add_u32 s36, s6, s2
	s_mul_i32 s38, s0, s38
	s_mul_i32 s0, s30, s9
	s_mul_hi_u32 s1, s30, s8
	s_addc_u32 s37, s7, s3
	v_and_b32_e32 v16, 0x3ff, v0
	s_add_i32 s0, s1, s0
	s_mul_i32 s1, s31, s8
	v_cvt_f32_u32_e32 v0, s33
	s_and_b32 s39, s16, 0xffff
	s_add_i32 s0, s0, s1
	s_mul_i32 s1, s30, s8
	s_sub_u32 s8, s28, s1
	s_subb_u32 s9, s29, s0
	s_bfe_i64 s[6:7], s[30:31], 0x200000
	s_mul_i32 s6, s30, s11
	s_mul_hi_u32 s11, s30, s10
	v_rcp_iflag_f32_e32 v0, v0
	s_add_i32 s6, s11, s6
	s_mul_i32 s7, s7, s10
	s_add_i32 s7, s6, s7
	s_mul_i32 s6, s30, s10
	s_mul_i32 s10, s8, s13
	s_mul_hi_u32 s11, s8, s12
	s_add_i32 s10, s11, s10
	s_mul_i32 s9, s9, s12
	s_ashr_i32 s40, s17, 31
	s_ashr_i32 s42, s18, 31
	s_add_i32 s9, s10, s9
	s_lshl_b64 s[6:7], s[6:7], 2
	v_mul_f32_e32 v0, 0x4f7ffffe, v0
	s_mul_i32 s8, s8, s12
	s_add_u32 s6, s4, s6
	v_cvt_u32_f32_e32 v17, v0
	v_sub_u32_e32 v1, v6, v2
	s_addc_u32 s7, s5, s7
	s_lshl_b64 s[4:5], s[8:9], 2
	v_add_u32_e32 v5, 1, v1
	s_brev_b32 s2, -2
	s_add_u32 s43, s6, s4
	s_mov_b32 s35, s25
	s_mov_b32 s41, s17
	v_cmp_gt_i32_e64 s[0:1], s25, v16
	v_cmp_gt_u32_e64 s[2:3], s2, v1
	s_addc_u32 s44, s7, s5
	v_max_i32_e32 v18, 1, v5
	s_mov_b64 s[8:9], 0
	v_mov_b32_e32 v1, 0
	s_branch .LBB1_15
.LBB1_14:                               ;   in Loop: Header=BB1_15 Depth=1
	s_or_b64 exec, exec, s[10:11]
	v_add_u32_e32 v4, s38, v4
	v_cmp_le_i32_e32 vcc, s24, v4
	s_or_b64 s[8:9], vcc, s[8:9]
	s_andn2_b64 exec, exec, s[8:9]
	s_cbranch_execz .LBB1_53
.LBB1_15:                               ; =>This Loop Header: Depth=1
                                        ;     Child Loop BB1_30 Depth 2
                                        ;       Child Loop BB1_46 Depth 3
                                        ;         Child Loop BB1_49 Depth 4
                                        ;           Child Loop BB1_51 Depth 5
	v_ashrrev_i32_e32 v3, 31, v4
	v_or_b32_e32 v7, s19, v3
	v_mov_b32_e32 v6, v1
	v_cmp_ne_u64_e32 vcc, 0, v[6:7]
                                        ; implicit-def: $vgpr6_vgpr7
	s_and_saveexec_b64 s[4:5], vcc
	s_xor_b64 s[4:5], exec, s[4:5]
	s_cbranch_execz .LBB1_17
; %bb.16:                               ;   in Loop: Header=BB1_15 Depth=1
	s_ashr_i32 s6, s33, 31
	s_add_i32 s7, s33, s6
	s_xor_b32 s7, s7, s6
	v_cvt_f32_u32_e32 v0, s7
	s_sub_i32 s10, 0, s7
	v_ashrrev_i32_e32 v6, 31, v4
	v_add_u32_e32 v7, v4, v6
	v_rcp_iflag_f32_e32 v0, v0
	v_xor_b32_e32 v7, v7, v6
	v_xor_b32_e32 v6, s6, v6
	v_mul_f32_e32 v0, 0x4f7ffffe, v0
	v_cvt_u32_f32_e32 v0, v0
	v_mul_lo_u32 v8, s10, v0
	v_mul_hi_u32 v8, v0, v8
	v_add_u32_e32 v0, v0, v8
	v_mul_hi_u32 v0, v7, v0
	v_mul_lo_u32 v8, v0, s7
	v_sub_u32_e32 v7, v7, v8
	v_add_u32_e32 v9, 1, v0
	v_subrev_u32_e32 v8, s7, v7
	v_cmp_le_u32_e32 vcc, s7, v7
	v_cndmask_b32_e32 v7, v7, v8, vcc
	v_cndmask_b32_e32 v0, v0, v9, vcc
	v_add_u32_e32 v8, 1, v0
	v_cmp_le_u32_e32 vcc, s7, v7
	v_cndmask_b32_e32 v0, v0, v8, vcc
	v_xor_b32_e32 v0, v0, v6
	v_sub_u32_e32 v6, v0, v6
	v_ashrrev_i32_e32 v7, 31, v6
.LBB1_17:                               ;   in Loop: Header=BB1_15 Depth=1
	s_andn2_saveexec_b64 s[4:5], s[4:5]
	s_cbranch_execz .LBB1_19
; %bb.18:                               ;   in Loop: Header=BB1_15 Depth=1
	s_sub_i32 s6, 0, s33
	v_mul_lo_u32 v0, s6, v17
	v_mul_hi_u32 v0, v17, v0
	v_add_u32_e32 v0, v17, v0
	v_mul_hi_u32 v0, v4, v0
	v_mul_lo_u32 v6, v0, s33
	v_sub_u32_e32 v6, v4, v6
	v_subrev_u32_e32 v7, s33, v6
	v_cmp_le_u32_e32 vcc, s33, v6
	v_cndmask_b32_e32 v6, v6, v7, vcc
	v_add_u32_e32 v7, 1, v0
	v_cndmask_b32_e32 v0, v0, v7, vcc
	v_add_u32_e32 v7, 1, v0
	v_cmp_le_u32_e32 vcc, s33, v6
	v_cndmask_b32_e32 v0, v0, v7, vcc
	v_pk_mov_b32 v[6:7], v[0:1], v[0:1] op_sel:[0,1]
.LBB1_19:                               ;   in Loop: Header=BB1_15 Depth=1
	s_or_b64 exec, exec, s[4:5]
	v_mul_lo_u32 v0, v7, s33
	v_mul_lo_u32 v7, v6, s19
	v_mad_u64_u32 v[8:9], s[4:5], v6, s33, 0
	v_add3_u32 v0, v9, v7, v0
	v_sub_co_u32_e32 v7, vcc, v4, v8
	v_subb_co_u32_e32 v0, vcc, v3, v0, vcc
	v_mul_lo_u32 v0, v0, s41
	v_mul_lo_u32 v8, v7, s40
	v_mad_u64_u32 v[10:11], s[4:5], v7, s41, 0
	v_add3_u32 v11, v11, v8, v0
	v_or_b32_e32 v9, s19, v11
	v_mov_b32_e32 v8, v1
	v_cmp_ne_u64_e32 vcc, 0, v[8:9]
                                        ; implicit-def: $vgpr8_vgpr9
	s_and_saveexec_b64 s[4:5], vcc
	s_xor_b64 s[6:7], exec, s[4:5]
	s_cbranch_execz .LBB1_21
; %bb.20:                               ;   in Loop: Header=BB1_15 Depth=1
	s_add_u32 s4, s33, s19
	s_mov_b32 s10, s19
	s_mov_b32 s11, s19
	s_addc_u32 s5, s19, s19
	s_xor_b64 s[12:13], s[4:5], s[10:11]
	v_cvt_f32_u32_e32 v0, s12
	v_cvt_f32_u32_e32 v7, s13
	s_sub_u32 s4, 0, s12
	s_subb_u32 s5, 0, s13
	v_mac_f32_e32 v0, 0x4f800000, v7
	v_rcp_f32_e32 v0, v0
	v_mul_f32_e32 v0, 0x5f7ffffc, v0
	v_mul_f32_e32 v7, 0x2f800000, v0
	v_trunc_f32_e32 v7, v7
	v_mac_f32_e32 v0, 0xcf800000, v7
	v_cvt_u32_f32_e32 v7, v7
	v_cvt_u32_f32_e32 v0, v0
	v_mul_lo_u32 v8, s4, v7
	v_mul_hi_u32 v12, s4, v0
	v_mul_lo_u32 v9, s5, v0
	v_add_u32_e32 v8, v12, v8
	v_mul_lo_u32 v13, s4, v0
	v_add_u32_e32 v8, v8, v9
	v_mul_lo_u32 v12, v0, v8
	v_mul_hi_u32 v14, v0, v13
	v_mul_hi_u32 v9, v0, v8
	v_add_co_u32_e32 v12, vcc, v14, v12
	v_addc_co_u32_e32 v9, vcc, 0, v9, vcc
	v_mul_hi_u32 v15, v7, v13
	v_mul_lo_u32 v13, v7, v13
	v_add_co_u32_e32 v12, vcc, v12, v13
	v_mul_hi_u32 v14, v7, v8
	v_addc_co_u32_e32 v9, vcc, v9, v15, vcc
	v_addc_co_u32_e32 v12, vcc, 0, v14, vcc
	v_mul_lo_u32 v8, v7, v8
	v_add_co_u32_e32 v8, vcc, v9, v8
	v_addc_co_u32_e32 v9, vcc, 0, v12, vcc
	v_add_co_u32_e32 v0, vcc, v0, v8
	v_addc_co_u32_e32 v7, vcc, v7, v9, vcc
	v_mul_lo_u32 v8, s4, v7
	v_mul_hi_u32 v9, s4, v0
	v_add_u32_e32 v8, v9, v8
	v_mul_lo_u32 v9, s5, v0
	v_add_u32_e32 v8, v8, v9
	v_mul_lo_u32 v12, s4, v0
	v_mul_hi_u32 v13, v7, v12
	v_mul_lo_u32 v14, v7, v12
	v_mul_lo_u32 v19, v0, v8
	v_mul_hi_u32 v12, v0, v12
	v_mul_hi_u32 v15, v0, v8
	v_add_co_u32_e32 v12, vcc, v12, v19
	v_addc_co_u32_e32 v15, vcc, 0, v15, vcc
	v_add_co_u32_e32 v12, vcc, v12, v14
	v_mul_hi_u32 v9, v7, v8
	v_addc_co_u32_e32 v12, vcc, v15, v13, vcc
	v_addc_co_u32_e32 v9, vcc, 0, v9, vcc
	v_mul_lo_u32 v8, v7, v8
	v_add_co_u32_e32 v8, vcc, v12, v8
	v_addc_co_u32_e32 v9, vcc, 0, v9, vcc
	v_add_co_u32_e32 v0, vcc, v0, v8
	v_addc_co_u32_e32 v7, vcc, v7, v9, vcc
	v_ashrrev_i32_e32 v12, 31, v11
	v_add_co_u32_e32 v8, vcc, v10, v12
	v_addc_co_u32_e32 v9, vcc, v11, v12, vcc
	v_xor_b32_e32 v14, v8, v12
	v_xor_b32_e32 v13, v9, v12
	v_mad_u64_u32 v[8:9], s[4:5], v14, v7, 0
	v_mul_hi_u32 v10, v14, v0
	v_add_co_u32_e32 v15, vcc, v10, v8
	v_addc_co_u32_e32 v19, vcc, 0, v9, vcc
	v_mad_u64_u32 v[10:11], s[4:5], v13, v0, 0
	v_add_co_u32_e32 v0, vcc, v15, v10
	v_mad_u64_u32 v[8:9], s[4:5], v13, v7, 0
	v_addc_co_u32_e32 v0, vcc, v19, v11, vcc
	v_addc_co_u32_e32 v7, vcc, 0, v9, vcc
	v_add_co_u32_e32 v0, vcc, v0, v8
	v_addc_co_u32_e32 v7, vcc, 0, v7, vcc
	v_mul_lo_u32 v10, s13, v0
	v_mul_lo_u32 v7, s12, v7
	v_mad_u64_u32 v[8:9], s[4:5], s12, v0, 0
	v_add3_u32 v7, v9, v7, v10
	v_sub_u32_e32 v9, v13, v7
	v_mov_b32_e32 v10, s13
	v_sub_co_u32_e32 v8, vcc, v14, v8
	v_subb_co_u32_e64 v9, s[4:5], v9, v10, vcc
	v_subrev_co_u32_e64 v10, s[4:5], s12, v8
	v_subbrev_co_u32_e64 v9, s[4:5], 0, v9, s[4:5]
	v_cmp_le_u32_e64 s[4:5], s13, v9
	v_subb_co_u32_e32 v7, vcc, v13, v7, vcc
	v_cndmask_b32_e64 v11, 0, -1, s[4:5]
	v_cmp_le_u32_e64 s[4:5], s12, v10
	v_cmp_le_u32_e32 vcc, s13, v7
	v_cndmask_b32_e64 v10, 0, -1, s[4:5]
	v_cmp_eq_u32_e64 s[4:5], s13, v9
	v_cndmask_b32_e64 v13, 0, -1, vcc
	v_cmp_le_u32_e32 vcc, s12, v8
	v_cndmask_b32_e64 v9, v11, v10, s[4:5]
	v_cndmask_b32_e64 v8, 0, -1, vcc
	v_cmp_eq_u32_e32 vcc, s13, v7
	v_add_co_u32_e64 v10, s[4:5], 2, v0
	v_add_co_u32_e64 v11, s[4:5], 1, v0
	v_cndmask_b32_e32 v7, v13, v8, vcc
	v_cmp_ne_u32_e32 vcc, 0, v9
	v_cndmask_b32_e32 v8, v11, v10, vcc
	v_cmp_ne_u32_e32 vcc, 0, v7
	v_cndmask_b32_e32 v0, v0, v8, vcc
	v_xor_b32_e32 v7, s10, v12
	v_xor_b32_e32 v0, v0, v7
	v_sub_co_u32_e32 v8, vcc, v0, v7
                                        ; implicit-def: $vgpr10_vgpr11
.LBB1_21:                               ;   in Loop: Header=BB1_15 Depth=1
	s_andn2_saveexec_b64 s[4:5], s[6:7]
	s_cbranch_execz .LBB1_23
; %bb.22:                               ;   in Loop: Header=BB1_15 Depth=1
	s_sub_i32 s6, 0, s33
	v_mul_lo_u32 v0, s6, v17
	v_mul_hi_u32 v0, v17, v0
	v_add_u32_e32 v0, v17, v0
	v_mul_hi_u32 v0, v10, v0
	v_mul_lo_u32 v7, v0, s33
	v_sub_u32_e32 v7, v10, v7
	v_subrev_u32_e32 v8, s33, v7
	v_cmp_le_u32_e32 vcc, s33, v7
	v_cndmask_b32_e32 v7, v7, v8, vcc
	v_add_u32_e32 v8, 1, v0
	v_cndmask_b32_e32 v0, v0, v8, vcc
	v_add_u32_e32 v8, 1, v0
	v_cmp_le_u32_e32 vcc, s33, v7
	v_cndmask_b32_e32 v8, v0, v8, vcc
.LBB1_23:                               ;   in Loop: Header=BB1_15 Depth=1
	s_or_b64 exec, exec, s[4:5]
	v_add_co_u32_e32 v0, vcc, 1, v4
	v_addc_co_u32_e32 v3, vcc, 0, v3, vcc
	v_mul_lo_u32 v7, v0, s40
	v_mul_lo_u32 v3, v3, s41
	v_mad_u64_u32 v[10:11], s[4:5], v0, s41, -1
	v_add3_u32 v11, v3, v11, v7
	v_or_b32_e32 v13, s19, v11
	v_mov_b32_e32 v12, v1
	v_cmp_ne_u64_e32 vcc, 0, v[12:13]
                                        ; implicit-def: $vgpr12_vgpr13
	s_and_saveexec_b64 s[4:5], vcc
	s_xor_b64 s[6:7], exec, s[4:5]
	s_cbranch_execnz .LBB1_26
; %bb.24:                               ;   in Loop: Header=BB1_15 Depth=1
	s_andn2_saveexec_b64 s[4:5], s[6:7]
	s_cbranch_execnz .LBB1_27
.LBB1_25:                               ;   in Loop: Header=BB1_15 Depth=1
	s_or_b64 exec, exec, s[4:5]
	s_and_saveexec_b64 s[10:11], s[0:1]
	s_cbranch_execz .LBB1_14
	s_branch .LBB1_28
.LBB1_26:                               ;   in Loop: Header=BB1_15 Depth=1
	s_add_u32 s4, s33, s19
	s_mov_b32 s10, s19
	s_mov_b32 s11, s19
	s_addc_u32 s5, s19, s19
	s_xor_b64 s[12:13], s[4:5], s[10:11]
	v_cvt_f32_u32_e32 v0, s12
	v_cvt_f32_u32_e32 v3, s13
	s_sub_u32 s4, 0, s12
	s_subb_u32 s5, 0, s13
	v_mac_f32_e32 v0, 0x4f800000, v3
	v_rcp_f32_e32 v0, v0
	v_mul_f32_e32 v0, 0x5f7ffffc, v0
	v_mul_f32_e32 v3, 0x2f800000, v0
	v_trunc_f32_e32 v3, v3
	v_mac_f32_e32 v0, 0xcf800000, v3
	v_cvt_u32_f32_e32 v3, v3
	v_cvt_u32_f32_e32 v0, v0
	v_mul_lo_u32 v7, s4, v3
	v_mul_hi_u32 v12, s4, v0
	v_mul_lo_u32 v9, s5, v0
	v_add_u32_e32 v7, v12, v7
	v_mul_lo_u32 v13, s4, v0
	v_add_u32_e32 v7, v7, v9
	v_mul_lo_u32 v12, v0, v7
	v_mul_hi_u32 v14, v0, v13
	v_mul_hi_u32 v9, v0, v7
	v_add_co_u32_e32 v12, vcc, v14, v12
	v_addc_co_u32_e32 v9, vcc, 0, v9, vcc
	v_mul_hi_u32 v15, v3, v13
	v_mul_lo_u32 v13, v3, v13
	v_add_co_u32_e32 v12, vcc, v12, v13
	v_mul_hi_u32 v14, v3, v7
	v_addc_co_u32_e32 v9, vcc, v9, v15, vcc
	v_addc_co_u32_e32 v12, vcc, 0, v14, vcc
	v_mul_lo_u32 v7, v3, v7
	v_add_co_u32_e32 v7, vcc, v9, v7
	v_addc_co_u32_e32 v9, vcc, 0, v12, vcc
	v_add_co_u32_e32 v0, vcc, v0, v7
	v_addc_co_u32_e32 v3, vcc, v3, v9, vcc
	v_mul_lo_u32 v7, s4, v3
	v_mul_hi_u32 v9, s4, v0
	v_add_u32_e32 v7, v9, v7
	v_mul_lo_u32 v9, s5, v0
	v_add_u32_e32 v7, v7, v9
	v_mul_lo_u32 v12, s4, v0
	v_mul_hi_u32 v13, v3, v12
	v_mul_lo_u32 v14, v3, v12
	v_mul_lo_u32 v19, v0, v7
	v_mul_hi_u32 v12, v0, v12
	v_mul_hi_u32 v15, v0, v7
	v_add_co_u32_e32 v12, vcc, v12, v19
	v_addc_co_u32_e32 v15, vcc, 0, v15, vcc
	v_add_co_u32_e32 v12, vcc, v12, v14
	v_mul_hi_u32 v9, v3, v7
	v_addc_co_u32_e32 v12, vcc, v15, v13, vcc
	v_addc_co_u32_e32 v9, vcc, 0, v9, vcc
	v_mul_lo_u32 v7, v3, v7
	v_add_co_u32_e32 v7, vcc, v12, v7
	v_addc_co_u32_e32 v9, vcc, 0, v9, vcc
	v_add_co_u32_e32 v0, vcc, v0, v7
	v_addc_co_u32_e32 v3, vcc, v3, v9, vcc
	v_ashrrev_i32_e32 v7, 31, v11
	v_add_co_u32_e32 v9, vcc, v10, v7
	v_addc_co_u32_e32 v10, vcc, v11, v7, vcc
	v_xor_b32_e32 v9, v9, v7
	v_xor_b32_e32 v14, v10, v7
	v_mad_u64_u32 v[10:11], s[4:5], v9, v3, 0
	v_mul_hi_u32 v12, v9, v0
	v_add_co_u32_e32 v15, vcc, v12, v10
	v_addc_co_u32_e32 v19, vcc, 0, v11, vcc
	v_mad_u64_u32 v[12:13], s[4:5], v14, v0, 0
	v_add_co_u32_e32 v0, vcc, v15, v12
	v_mad_u64_u32 v[10:11], s[4:5], v14, v3, 0
	v_addc_co_u32_e32 v0, vcc, v19, v13, vcc
	v_addc_co_u32_e32 v3, vcc, 0, v11, vcc
	v_add_co_u32_e32 v0, vcc, v0, v10
	v_addc_co_u32_e32 v3, vcc, 0, v3, vcc
	v_mul_lo_u32 v12, s13, v0
	v_mul_lo_u32 v3, s12, v3
	v_mad_u64_u32 v[10:11], s[4:5], s12, v0, 0
	v_add3_u32 v3, v11, v3, v12
	v_sub_u32_e32 v11, v14, v3
	v_mov_b32_e32 v12, s13
	v_sub_co_u32_e32 v9, vcc, v9, v10
	v_subb_co_u32_e64 v10, s[4:5], v11, v12, vcc
	v_subrev_co_u32_e64 v11, s[4:5], s12, v9
	v_subbrev_co_u32_e64 v10, s[4:5], 0, v10, s[4:5]
	v_cmp_le_u32_e64 s[4:5], s13, v10
	v_subb_co_u32_e32 v3, vcc, v14, v3, vcc
	v_cndmask_b32_e64 v12, 0, -1, s[4:5]
	v_cmp_le_u32_e64 s[4:5], s12, v11
	v_cmp_le_u32_e32 vcc, s13, v3
	v_cndmask_b32_e64 v11, 0, -1, s[4:5]
	v_cmp_eq_u32_e64 s[4:5], s13, v10
	v_cndmask_b32_e64 v13, 0, -1, vcc
	v_cmp_le_u32_e32 vcc, s12, v9
	v_cndmask_b32_e64 v10, v12, v11, s[4:5]
	v_cndmask_b32_e64 v9, 0, -1, vcc
	v_cmp_eq_u32_e32 vcc, s13, v3
	v_add_co_u32_e64 v11, s[4:5], 2, v0
	v_add_co_u32_e64 v12, s[4:5], 1, v0
	v_cndmask_b32_e32 v3, v13, v9, vcc
	v_cmp_ne_u32_e32 vcc, 0, v10
	v_cndmask_b32_e32 v9, v12, v11, vcc
	v_cmp_ne_u32_e32 vcc, 0, v3
	v_cndmask_b32_e32 v0, v0, v9, vcc
	v_xor_b32_e32 v3, s10, v7
	v_xor_b32_e32 v0, v0, v3
	v_sub_co_u32_e32 v12, vcc, v0, v3
                                        ; implicit-def: $vgpr10_vgpr11
	s_andn2_saveexec_b64 s[4:5], s[6:7]
	s_cbranch_execz .LBB1_25
.LBB1_27:                               ;   in Loop: Header=BB1_15 Depth=1
	s_sub_i32 s6, 0, s33
	v_mul_lo_u32 v0, s6, v17
	v_mul_hi_u32 v0, v17, v0
	v_add_u32_e32 v0, v17, v0
	v_mul_hi_u32 v0, v10, v0
	v_mul_lo_u32 v3, v0, s33
	v_sub_u32_e32 v3, v10, v3
	v_subrev_u32_e32 v7, s33, v3
	v_cmp_le_u32_e32 vcc, s33, v3
	v_cndmask_b32_e32 v3, v3, v7, vcc
	v_add_u32_e32 v7, 1, v0
	v_cndmask_b32_e32 v0, v0, v7, vcc
	v_add_u32_e32 v7, 1, v0
	v_cmp_le_u32_e32 vcc, s33, v3
	v_cndmask_b32_e32 v12, v0, v7, vcc
	s_or_b64 exec, exec, s[4:5]
	s_and_saveexec_b64 s[10:11], s[0:1]
	s_cbranch_execz .LBB1_14
.LBB1_28:                               ;   in Loop: Header=BB1_15 Depth=1
	v_mad_u64_u32 v[6:7], s[4:5], v6, s41, v[8:9]
	v_mul_lo_u32 v8, v4, s25
	v_ashrrev_i32_e32 v9, 31, v8
	v_sub_u32_e32 v0, v12, v6
	v_lshlrev_b64 v[8:9], 2, v[8:9]
	v_add_u32_e32 v3, 1, v0
	v_mov_b32_e32 v0, s37
	v_add_co_u32_e32 v7, vcc, s36, v8
	v_addc_co_u32_e32 v19, vcc, v0, v9, vcc
	v_cmp_lt_i32_e64 s[4:5], 0, v3
	v_mul_lo_u32 v20, v3, v5
	s_mov_b64 s[12:13], 0
	v_mov_b32_e32 v0, v16
	s_branch .LBB1_30
.LBB1_29:                               ;   in Loop: Header=BB1_30 Depth=2
	v_mul_lo_u32 v8, v20, v10
	v_cvt_f32_i32_e32 v8, v8
	v_lshlrev_b64 v[10:11], 2, v[0:1]
	v_add_co_u32_e32 v10, vcc, v7, v10
	v_div_scale_f32 v12, s[6:7], v8, v8, v9
	v_rcp_f32_e32 v13, v12
	v_addc_co_u32_e32 v11, vcc, v19, v11, vcc
	v_add_u32_e32 v0, s39, v0
	v_fma_f32 v14, -v12, v13, 1.0
	v_fmac_f32_e32 v13, v14, v13
	v_div_scale_f32 v14, vcc, v9, v8, v9
	v_mul_f32_e32 v15, v14, v13
	v_fma_f32 v21, -v12, v15, v14
	v_fmac_f32_e32 v15, v21, v13
	v_fma_f32 v12, -v12, v15, v14
	v_div_fmas_f32 v12, v12, v13, v15
	v_cmp_le_i32_e32 vcc, s25, v0
	v_div_fixup_f32 v8, v12, v8, v9
	s_or_b64 s[12:13], vcc, s[12:13]
	global_store_dword v[10:11], v8, off
	s_andn2_b64 exec, exec, s[12:13]
	s_cbranch_execz .LBB1_14
.LBB1_30:                               ;   Parent Loop BB1_15 Depth=1
                                        ; =>  This Loop Header: Depth=2
                                        ;       Child Loop BB1_46 Depth 3
                                        ;         Child Loop BB1_49 Depth 4
                                        ;           Child Loop BB1_51 Depth 5
	v_or_b32_e64 v9, 0, s34
	v_mov_b32_e32 v8, v1
	v_cmp_ne_u64_e32 vcc, 0, v[8:9]
                                        ; implicit-def: $vgpr8_vgpr9
	s_and_saveexec_b64 s[6:7], vcc
	s_xor_b64 s[16:17], exec, s[6:7]
	s_cbranch_execz .LBB1_32
; %bb.31:                               ;   in Loop: Header=BB1_30 Depth=2
	s_add_u32 s6, s35, s34
	s_mov_b32 s26, s34
	s_mov_b32 s27, s34
	s_addc_u32 s7, s34, s34
	s_xor_b64 s[28:29], s[6:7], s[26:27]
	v_cvt_f32_u32_e32 v8, s28
	v_cvt_f32_u32_e32 v9, s29
	s_sub_u32 s6, 0, s28
	s_subb_u32 s7, 0, s29
	v_mac_f32_e32 v8, 0x4f800000, v9
	v_rcp_f32_e32 v8, v8
	v_mul_f32_e32 v8, 0x5f7ffffc, v8
	v_mul_f32_e32 v9, 0x2f800000, v8
	v_trunc_f32_e32 v9, v9
	v_mac_f32_e32 v8, 0xcf800000, v9
	v_cvt_u32_f32_e32 v9, v9
	v_cvt_u32_f32_e32 v8, v8
	v_mul_lo_u32 v10, s6, v9
	v_mul_hi_u32 v12, s6, v8
	v_mul_lo_u32 v11, s7, v8
	v_add_u32_e32 v10, v12, v10
	v_mul_lo_u32 v13, s6, v8
	v_add_u32_e32 v10, v10, v11
	v_mul_lo_u32 v12, v8, v10
	v_mul_hi_u32 v14, v8, v13
	v_mul_hi_u32 v11, v8, v10
	v_add_co_u32_e32 v12, vcc, v14, v12
	v_addc_co_u32_e32 v11, vcc, 0, v11, vcc
	v_mul_hi_u32 v15, v9, v13
	v_mul_lo_u32 v13, v9, v13
	v_add_co_u32_e32 v12, vcc, v12, v13
	v_mul_hi_u32 v14, v9, v10
	v_addc_co_u32_e32 v11, vcc, v11, v15, vcc
	v_addc_co_u32_e32 v12, vcc, 0, v14, vcc
	v_mul_lo_u32 v10, v9, v10
	v_add_co_u32_e32 v10, vcc, v11, v10
	v_addc_co_u32_e32 v11, vcc, 0, v12, vcc
	v_add_co_u32_e32 v8, vcc, v8, v10
	v_addc_co_u32_e32 v9, vcc, v9, v11, vcc
	v_mul_lo_u32 v10, s6, v9
	v_mul_hi_u32 v11, s6, v8
	v_add_u32_e32 v10, v11, v10
	v_mul_lo_u32 v11, s7, v8
	v_add_u32_e32 v10, v10, v11
	v_mul_lo_u32 v12, s6, v8
	v_mul_hi_u32 v13, v9, v12
	v_mul_lo_u32 v14, v9, v12
	v_mul_lo_u32 v21, v8, v10
	v_mul_hi_u32 v12, v8, v12
	v_mul_hi_u32 v15, v8, v10
	v_add_co_u32_e32 v12, vcc, v12, v21
	v_addc_co_u32_e32 v15, vcc, 0, v15, vcc
	v_add_co_u32_e32 v12, vcc, v12, v14
	v_mul_hi_u32 v11, v9, v10
	v_addc_co_u32_e32 v12, vcc, v15, v13, vcc
	v_addc_co_u32_e32 v11, vcc, 0, v11, vcc
	v_mul_lo_u32 v10, v9, v10
	v_add_co_u32_e32 v10, vcc, v12, v10
	v_addc_co_u32_e32 v11, vcc, 0, v11, vcc
	v_add_co_u32_e32 v10, vcc, v8, v10
	v_addc_co_u32_e32 v11, vcc, v9, v11, vcc
	v_ashrrev_i32_e64 v12, 31, 0
	v_add_co_u32_e32 v8, vcc, v0, v12
	v_addc_co_u32_e32 v9, vcc, 0, v12, vcc
	v_xor_b32_e32 v14, v8, v12
	v_xor_b32_e32 v13, v9, v12
	v_mad_u64_u32 v[8:9], s[6:7], v14, v11, 0
	v_mul_hi_u32 v15, v14, v10
	v_add_co_u32_e32 v15, vcc, v15, v8
	v_addc_co_u32_e32 v21, vcc, 0, v9, vcc
	v_mad_u64_u32 v[8:9], s[6:7], v13, v11, 0
	v_mad_u64_u32 v[10:11], s[6:7], v13, v10, 0
	v_add_co_u32_e32 v10, vcc, v15, v10
	v_addc_co_u32_e32 v10, vcc, v21, v11, vcc
	v_addc_co_u32_e32 v9, vcc, 0, v9, vcc
	v_add_co_u32_e32 v10, vcc, v10, v8
	v_addc_co_u32_e32 v11, vcc, 0, v9, vcc
	v_mul_lo_u32 v15, s29, v10
	v_mul_lo_u32 v21, s28, v11
	v_mad_u64_u32 v[8:9], s[6:7], s28, v10, 0
	v_add3_u32 v9, v9, v21, v15
	v_sub_u32_e32 v15, v13, v9
	v_mov_b32_e32 v21, s29
	v_sub_co_u32_e32 v8, vcc, v14, v8
	v_subb_co_u32_e64 v14, s[6:7], v15, v21, vcc
	v_subrev_co_u32_e64 v15, s[6:7], s28, v8
	v_subbrev_co_u32_e64 v14, s[6:7], 0, v14, s[6:7]
	v_cmp_le_u32_e64 s[6:7], s29, v14
	v_cndmask_b32_e64 v21, 0, -1, s[6:7]
	v_cmp_le_u32_e64 s[6:7], s28, v15
	v_cndmask_b32_e64 v15, 0, -1, s[6:7]
	v_cmp_eq_u32_e64 s[6:7], s29, v14
	v_cndmask_b32_e64 v14, v21, v15, s[6:7]
	v_add_co_u32_e64 v15, s[6:7], 2, v10
	v_subb_co_u32_e32 v9, vcc, v13, v9, vcc
	v_addc_co_u32_e64 v21, s[6:7], 0, v11, s[6:7]
	v_cmp_le_u32_e32 vcc, s29, v9
	v_add_co_u32_e64 v22, s[6:7], 1, v10
	v_cndmask_b32_e64 v13, 0, -1, vcc
	v_cmp_le_u32_e32 vcc, s28, v8
	v_addc_co_u32_e64 v23, s[6:7], 0, v11, s[6:7]
	v_cndmask_b32_e64 v8, 0, -1, vcc
	v_cmp_eq_u32_e32 vcc, s29, v9
	v_cmp_ne_u32_e64 s[6:7], 0, v14
	v_cndmask_b32_e32 v8, v13, v8, vcc
	v_cndmask_b32_e64 v14, v23, v21, s[6:7]
	v_cmp_ne_u32_e32 vcc, 0, v8
	v_cndmask_b32_e64 v9, v22, v15, s[6:7]
	v_cndmask_b32_e32 v8, v11, v14, vcc
	v_cndmask_b32_e32 v9, v10, v9, vcc
	v_xor_b32_e32 v10, s27, v12
	v_xor_b32_e32 v11, s26, v12
	;; [unrolled: 1-line block ×4, first 2 shown]
	v_sub_co_u32_e32 v8, vcc, v8, v11
	v_subb_co_u32_e32 v9, vcc, v12, v10, vcc
.LBB1_32:                               ;   in Loop: Header=BB1_30 Depth=2
	s_or_saveexec_b64 s[6:7], s[16:17]
	v_cvt_f32_u32_e32 v21, s35
	s_xor_b64 exec, exec, s[6:7]
	s_cbranch_execz .LBB1_34
; %bb.33:                               ;   in Loop: Header=BB1_30 Depth=2
	v_rcp_iflag_f32_e32 v8, v21
	s_sub_i32 s16, 0, s35
	v_mul_f32_e32 v8, 0x4f7ffffe, v8
	v_cvt_u32_f32_e32 v8, v8
	v_mul_lo_u32 v9, s16, v8
	v_mul_hi_u32 v9, v8, v9
	v_add_u32_e32 v8, v8, v9
	v_mul_hi_u32 v8, v0, v8
	v_mul_lo_u32 v9, v8, s35
	v_sub_u32_e32 v9, v0, v9
	v_add_u32_e32 v10, 1, v8
	v_subrev_u32_e32 v11, s35, v9
	v_cmp_le_u32_e32 vcc, s35, v9
	v_cndmask_b32_e32 v9, v9, v11, vcc
	v_cndmask_b32_e32 v8, v8, v10, vcc
	v_add_u32_e32 v10, 1, v8
	v_cmp_le_u32_e32 vcc, s35, v9
	v_cndmask_b32_e32 v8, v8, v10, vcc
	v_mov_b32_e32 v9, v1
.LBB1_34:                               ;   in Loop: Header=BB1_30 Depth=2
	s_or_b64 exec, exec, s[6:7]
	v_mul_lo_u32 v9, v9, s35
	v_mul_lo_u32 v12, v8, s34
	v_mad_u64_u32 v[10:11], s[6:7], v8, s35, 0
	v_add3_u32 v9, v11, v12, v9
	v_sub_co_u32_e32 v10, vcc, v0, v10
	v_subb_co_u32_e32 v9, vcc, 0, v9, vcc
	v_mul_lo_u32 v9, v9, s18
	v_mul_lo_u32 v11, v10, s42
	v_mad_u64_u32 v[12:13], s[6:7], v10, s18, 0
	v_add3_u32 v13, v13, v11, v9
	v_or_b32_e32 v11, s34, v13
	v_mov_b32_e32 v10, v1
	v_cmp_ne_u64_e32 vcc, 0, v[10:11]
                                        ; implicit-def: $vgpr10_vgpr11
	s_and_saveexec_b64 s[6:7], vcc
	s_xor_b64 s[16:17], exec, s[6:7]
	s_cbranch_execz .LBB1_36
; %bb.35:                               ;   in Loop: Header=BB1_30 Depth=2
	s_add_u32 s6, s35, s34
	s_mov_b32 s26, s34
	s_mov_b32 s27, s34
	s_addc_u32 s7, s34, s34
	s_xor_b64 s[28:29], s[6:7], s[26:27]
	v_cvt_f32_u32_e32 v9, s28
	v_cvt_f32_u32_e32 v10, s29
	s_sub_u32 s6, 0, s28
	s_subb_u32 s7, 0, s29
	v_mac_f32_e32 v9, 0x4f800000, v10
	v_rcp_f32_e32 v9, v9
	v_mul_f32_e32 v9, 0x5f7ffffc, v9
	v_mul_f32_e32 v10, 0x2f800000, v9
	v_trunc_f32_e32 v10, v10
	v_mac_f32_e32 v9, 0xcf800000, v10
	v_cvt_u32_f32_e32 v10, v10
	v_cvt_u32_f32_e32 v9, v9
	v_mul_lo_u32 v11, s6, v10
	v_mul_hi_u32 v15, s6, v9
	v_mul_lo_u32 v14, s7, v9
	v_add_u32_e32 v11, v15, v11
	v_mul_lo_u32 v22, s6, v9
	v_add_u32_e32 v11, v11, v14
	v_mul_lo_u32 v15, v9, v11
	v_mul_hi_u32 v23, v9, v22
	v_mul_hi_u32 v14, v9, v11
	v_add_co_u32_e32 v15, vcc, v23, v15
	v_addc_co_u32_e32 v14, vcc, 0, v14, vcc
	v_mul_hi_u32 v24, v10, v22
	v_mul_lo_u32 v22, v10, v22
	v_add_co_u32_e32 v15, vcc, v15, v22
	v_mul_hi_u32 v23, v10, v11
	v_addc_co_u32_e32 v14, vcc, v14, v24, vcc
	v_addc_co_u32_e32 v15, vcc, 0, v23, vcc
	v_mul_lo_u32 v11, v10, v11
	v_add_co_u32_e32 v11, vcc, v14, v11
	v_addc_co_u32_e32 v14, vcc, 0, v15, vcc
	v_add_co_u32_e32 v9, vcc, v9, v11
	v_addc_co_u32_e32 v10, vcc, v10, v14, vcc
	v_mul_lo_u32 v11, s6, v10
	v_mul_hi_u32 v14, s6, v9
	v_add_u32_e32 v11, v14, v11
	v_mul_lo_u32 v14, s7, v9
	v_add_u32_e32 v11, v11, v14
	v_mul_lo_u32 v15, s6, v9
	v_mul_hi_u32 v22, v10, v15
	v_mul_lo_u32 v23, v10, v15
	v_mul_lo_u32 v25, v9, v11
	v_mul_hi_u32 v15, v9, v15
	v_mul_hi_u32 v24, v9, v11
	v_add_co_u32_e32 v15, vcc, v15, v25
	v_addc_co_u32_e32 v24, vcc, 0, v24, vcc
	v_add_co_u32_e32 v15, vcc, v15, v23
	v_mul_hi_u32 v14, v10, v11
	v_addc_co_u32_e32 v15, vcc, v24, v22, vcc
	v_addc_co_u32_e32 v14, vcc, 0, v14, vcc
	v_mul_lo_u32 v11, v10, v11
	v_add_co_u32_e32 v11, vcc, v15, v11
	v_addc_co_u32_e32 v14, vcc, 0, v14, vcc
	v_add_co_u32_e32 v9, vcc, v9, v11
	v_addc_co_u32_e32 v14, vcc, v10, v14, vcc
	v_ashrrev_i32_e32 v15, 31, v13
	v_add_co_u32_e32 v10, vcc, v12, v15
	v_addc_co_u32_e32 v11, vcc, v13, v15, vcc
	v_xor_b32_e32 v23, v10, v15
	v_xor_b32_e32 v22, v11, v15
	v_mad_u64_u32 v[10:11], s[6:7], v23, v14, 0
	v_mul_hi_u32 v12, v23, v9
	v_add_co_u32_e32 v24, vcc, v12, v10
	v_addc_co_u32_e32 v25, vcc, 0, v11, vcc
	v_mad_u64_u32 v[12:13], s[6:7], v22, v9, 0
	v_add_co_u32_e32 v9, vcc, v24, v12
	v_mad_u64_u32 v[10:11], s[6:7], v22, v14, 0
	v_addc_co_u32_e32 v9, vcc, v25, v13, vcc
	v_addc_co_u32_e32 v11, vcc, 0, v11, vcc
	v_add_co_u32_e32 v9, vcc, v9, v10
	v_addc_co_u32_e32 v10, vcc, 0, v11, vcc
	v_mul_lo_u32 v12, s29, v9
	v_mul_lo_u32 v13, s28, v10
	v_mad_u64_u32 v[10:11], s[6:7], s28, v9, 0
	v_add3_u32 v11, v11, v13, v12
	v_sub_u32_e32 v12, v22, v11
	v_mov_b32_e32 v13, s29
	v_sub_co_u32_e32 v10, vcc, v23, v10
	v_subb_co_u32_e64 v12, s[6:7], v12, v13, vcc
	v_subrev_co_u32_e64 v13, s[6:7], s28, v10
	v_subbrev_co_u32_e64 v12, s[6:7], 0, v12, s[6:7]
	v_cmp_le_u32_e64 s[6:7], s29, v12
	v_subb_co_u32_e32 v11, vcc, v22, v11, vcc
	v_cndmask_b32_e64 v14, 0, -1, s[6:7]
	v_cmp_le_u32_e64 s[6:7], s28, v13
	v_cmp_le_u32_e32 vcc, s29, v11
	v_cndmask_b32_e64 v13, 0, -1, s[6:7]
	v_cmp_eq_u32_e64 s[6:7], s29, v12
	v_cndmask_b32_e64 v22, 0, -1, vcc
	v_cmp_le_u32_e32 vcc, s28, v10
	v_cndmask_b32_e64 v12, v14, v13, s[6:7]
	v_cndmask_b32_e64 v10, 0, -1, vcc
	v_cmp_eq_u32_e32 vcc, s29, v11
	v_add_co_u32_e64 v13, s[6:7], 2, v9
	v_add_co_u32_e64 v14, s[6:7], 1, v9
	v_cndmask_b32_e32 v10, v22, v10, vcc
	v_cmp_ne_u32_e32 vcc, 0, v12
	v_cndmask_b32_e32 v11, v14, v13, vcc
	v_cmp_ne_u32_e32 vcc, 0, v10
	v_cndmask_b32_e32 v9, v9, v11, vcc
	v_xor_b32_e32 v10, s26, v15
	v_xor_b32_e32 v9, v9, v10
	v_sub_co_u32_e32 v10, vcc, v9, v10
                                        ; implicit-def: $vgpr12_vgpr13
.LBB1_36:                               ;   in Loop: Header=BB1_30 Depth=2
	s_andn2_saveexec_b64 s[6:7], s[16:17]
	s_cbranch_execz .LBB1_38
; %bb.37:                               ;   in Loop: Header=BB1_30 Depth=2
	v_rcp_iflag_f32_e32 v9, v21
	s_sub_i32 s16, 0, s35
	v_mul_f32_e32 v9, 0x4f7ffffe, v9
	v_cvt_u32_f32_e32 v9, v9
	v_mul_lo_u32 v10, s16, v9
	v_mul_hi_u32 v10, v9, v10
	v_add_u32_e32 v9, v9, v10
	v_mul_hi_u32 v9, v12, v9
	v_mul_lo_u32 v10, v9, s35
	v_sub_u32_e32 v10, v12, v10
	v_add_u32_e32 v11, 1, v9
	v_subrev_u32_e32 v12, s35, v10
	v_cmp_le_u32_e32 vcc, s35, v10
	v_cndmask_b32_e32 v10, v10, v12, vcc
	v_cndmask_b32_e32 v9, v9, v11, vcc
	v_add_u32_e32 v11, 1, v9
	v_cmp_le_u32_e32 vcc, s35, v10
	v_cndmask_b32_e32 v10, v9, v11, vcc
.LBB1_38:                               ;   in Loop: Header=BB1_30 Depth=2
	s_or_b64 exec, exec, s[6:7]
	v_add_co_u32_e32 v9, vcc, 1, v0
	v_addc_co_u32_e64 v11, s[6:7], 0, 0, vcc
	v_mul_lo_u32 v14, v9, s42
	v_mul_lo_u32 v11, v11, s18
	v_mad_u64_u32 v[12:13], s[6:7], v9, s18, -1
	v_add3_u32 v13, v11, v13, v14
	v_or_b32_e32 v15, s34, v13
	v_mov_b32_e32 v14, v1
	v_cmp_ne_u64_e32 vcc, 0, v[14:15]
                                        ; implicit-def: $vgpr14_vgpr15
	s_and_saveexec_b64 s[6:7], vcc
	s_xor_b64 s[16:17], exec, s[6:7]
	s_cbranch_execz .LBB1_40
; %bb.39:                               ;   in Loop: Header=BB1_30 Depth=2
	s_add_u32 s6, s35, s34
	s_mov_b32 s26, s34
	s_mov_b32 s27, s34
	s_addc_u32 s7, s34, s34
	s_xor_b64 s[28:29], s[6:7], s[26:27]
	v_cvt_f32_u32_e32 v9, s28
	v_cvt_f32_u32_e32 v11, s29
	s_sub_u32 s6, 0, s28
	s_subb_u32 s7, 0, s29
	v_mac_f32_e32 v9, 0x4f800000, v11
	v_rcp_f32_e32 v9, v9
	v_mul_f32_e32 v9, 0x5f7ffffc, v9
	v_mul_f32_e32 v11, 0x2f800000, v9
	v_trunc_f32_e32 v11, v11
	v_mac_f32_e32 v9, 0xcf800000, v11
	v_cvt_u32_f32_e32 v11, v11
	v_cvt_u32_f32_e32 v9, v9
	v_mul_lo_u32 v14, s6, v11
	v_mul_hi_u32 v21, s6, v9
	v_mul_lo_u32 v15, s7, v9
	v_add_u32_e32 v14, v21, v14
	v_mul_lo_u32 v22, s6, v9
	v_add_u32_e32 v14, v14, v15
	v_mul_lo_u32 v21, v9, v14
	v_mul_hi_u32 v23, v9, v22
	v_mul_hi_u32 v15, v9, v14
	v_add_co_u32_e32 v21, vcc, v23, v21
	v_addc_co_u32_e32 v15, vcc, 0, v15, vcc
	v_mul_hi_u32 v24, v11, v22
	v_mul_lo_u32 v22, v11, v22
	v_add_co_u32_e32 v21, vcc, v21, v22
	v_mul_hi_u32 v23, v11, v14
	v_addc_co_u32_e32 v15, vcc, v15, v24, vcc
	v_addc_co_u32_e32 v21, vcc, 0, v23, vcc
	v_mul_lo_u32 v14, v11, v14
	v_add_co_u32_e32 v14, vcc, v15, v14
	v_addc_co_u32_e32 v15, vcc, 0, v21, vcc
	v_add_co_u32_e32 v9, vcc, v9, v14
	v_addc_co_u32_e32 v11, vcc, v11, v15, vcc
	v_mul_lo_u32 v14, s6, v11
	v_mul_hi_u32 v15, s6, v9
	v_add_u32_e32 v14, v15, v14
	v_mul_lo_u32 v15, s7, v9
	v_add_u32_e32 v14, v14, v15
	v_mul_lo_u32 v21, s6, v9
	v_mul_hi_u32 v22, v11, v21
	v_mul_lo_u32 v23, v11, v21
	v_mul_lo_u32 v25, v9, v14
	v_mul_hi_u32 v21, v9, v21
	v_mul_hi_u32 v24, v9, v14
	v_add_co_u32_e32 v21, vcc, v21, v25
	v_addc_co_u32_e32 v24, vcc, 0, v24, vcc
	v_add_co_u32_e32 v21, vcc, v21, v23
	v_mul_hi_u32 v15, v11, v14
	v_addc_co_u32_e32 v21, vcc, v24, v22, vcc
	v_addc_co_u32_e32 v15, vcc, 0, v15, vcc
	v_mul_lo_u32 v14, v11, v14
	v_add_co_u32_e32 v14, vcc, v21, v14
	v_addc_co_u32_e32 v15, vcc, 0, v15, vcc
	v_add_co_u32_e32 v9, vcc, v9, v14
	v_addc_co_u32_e32 v11, vcc, v11, v15, vcc
	v_ashrrev_i32_e32 v21, 31, v13
	v_add_co_u32_e32 v12, vcc, v12, v21
	v_addc_co_u32_e32 v13, vcc, v13, v21, vcc
	v_xor_b32_e32 v23, v12, v21
	v_xor_b32_e32 v22, v13, v21
	v_mad_u64_u32 v[12:13], s[6:7], v23, v11, 0
	v_mul_hi_u32 v14, v23, v9
	v_add_co_u32_e32 v24, vcc, v14, v12
	v_addc_co_u32_e32 v25, vcc, 0, v13, vcc
	v_mad_u64_u32 v[14:15], s[6:7], v22, v9, 0
	v_add_co_u32_e32 v9, vcc, v24, v14
	v_mad_u64_u32 v[12:13], s[6:7], v22, v11, 0
	v_addc_co_u32_e32 v9, vcc, v25, v15, vcc
	v_addc_co_u32_e32 v11, vcc, 0, v13, vcc
	v_add_co_u32_e32 v9, vcc, v9, v12
	v_addc_co_u32_e32 v11, vcc, 0, v11, vcc
	v_mul_lo_u32 v14, s29, v9
	v_mul_lo_u32 v11, s28, v11
	v_mad_u64_u32 v[12:13], s[6:7], s28, v9, 0
	v_add3_u32 v11, v13, v11, v14
	v_sub_u32_e32 v13, v22, v11
	v_mov_b32_e32 v14, s29
	v_sub_co_u32_e32 v12, vcc, v23, v12
	v_subb_co_u32_e64 v13, s[6:7], v13, v14, vcc
	v_subrev_co_u32_e64 v14, s[6:7], s28, v12
	v_subbrev_co_u32_e64 v13, s[6:7], 0, v13, s[6:7]
	v_cmp_le_u32_e64 s[6:7], s29, v13
	v_subb_co_u32_e32 v11, vcc, v22, v11, vcc
	v_cndmask_b32_e64 v15, 0, -1, s[6:7]
	v_cmp_le_u32_e64 s[6:7], s28, v14
	v_cmp_le_u32_e32 vcc, s29, v11
	v_cndmask_b32_e64 v14, 0, -1, s[6:7]
	v_cmp_eq_u32_e64 s[6:7], s29, v13
	v_cndmask_b32_e64 v22, 0, -1, vcc
	v_cmp_le_u32_e32 vcc, s28, v12
	v_cndmask_b32_e64 v13, v15, v14, s[6:7]
	v_cndmask_b32_e64 v12, 0, -1, vcc
	v_cmp_eq_u32_e32 vcc, s29, v11
	v_add_co_u32_e64 v14, s[6:7], 2, v9
	v_add_co_u32_e64 v15, s[6:7], 1, v9
	v_cndmask_b32_e32 v11, v22, v12, vcc
	v_cmp_ne_u32_e32 vcc, 0, v13
	v_cndmask_b32_e32 v12, v15, v14, vcc
	v_cmp_ne_u32_e32 vcc, 0, v11
	v_cndmask_b32_e32 v9, v9, v12, vcc
	v_xor_b32_e32 v11, s26, v21
	v_xor_b32_e32 v9, v9, v11
	v_sub_co_u32_e32 v14, vcc, v9, v11
                                        ; implicit-def: $vgpr21
                                        ; implicit-def: $vgpr12_vgpr13
.LBB1_40:                               ;   in Loop: Header=BB1_30 Depth=2
	s_andn2_saveexec_b64 s[6:7], s[16:17]
	s_cbranch_execz .LBB1_42
; %bb.41:                               ;   in Loop: Header=BB1_30 Depth=2
	v_rcp_iflag_f32_e32 v9, v21
	s_sub_i32 s16, 0, s35
	v_mul_f32_e32 v9, 0x4f7ffffe, v9
	v_cvt_u32_f32_e32 v9, v9
	v_mul_lo_u32 v11, s16, v9
	v_mul_hi_u32 v11, v9, v11
	v_add_u32_e32 v9, v9, v11
	v_mul_hi_u32 v9, v12, v9
	v_mul_lo_u32 v11, v9, s35
	v_sub_u32_e32 v11, v12, v11
	v_add_u32_e32 v13, 1, v9
	v_subrev_u32_e32 v12, s35, v11
	v_cmp_le_u32_e32 vcc, s35, v11
	v_cndmask_b32_e32 v11, v11, v12, vcc
	v_cndmask_b32_e32 v9, v9, v13, vcc
	v_add_u32_e32 v12, 1, v9
	v_cmp_le_u32_e32 vcc, s35, v11
	v_cndmask_b32_e32 v14, v9, v12, vcc
.LBB1_42:                               ;   in Loop: Header=BB1_30 Depth=2
	s_or_b64 exec, exec, s[6:7]
	v_mad_u64_u32 v[8:9], s[6:7], v8, s18, v[10:11]
	v_sub_u32_e32 v9, v14, v8
	v_add_u32_e32 v10, 1, v9
	s_andn2_b64 vcc, exec, s[2:3]
	v_mov_b32_e32 v9, 0
	s_cbranch_vccnz .LBB1_29
; %bb.43:                               ;   in Loop: Header=BB1_30 Depth=2
	s_mov_b32 s45, 0
	v_cmp_lt_i32_e64 s[6:7], 0, v10
	v_mov_b32_e32 v9, 0
	s_branch .LBB1_46
.LBB1_44:                               ;   in Loop: Header=BB1_46 Depth=3
	s_or_b64 exec, exec, s[26:27]
.LBB1_45:                               ;   in Loop: Header=BB1_46 Depth=3
	s_or_b64 exec, exec, s[16:17]
	s_add_i32 s45, s45, 1
	v_cmp_ne_u32_e32 vcc, s45, v18
	s_cbranch_vccz .LBB1_29
.LBB1_46:                               ;   Parent Loop BB1_15 Depth=1
                                        ;     Parent Loop BB1_30 Depth=2
                                        ; =>    This Loop Header: Depth=3
                                        ;         Child Loop BB1_49 Depth 4
                                        ;           Child Loop BB1_51 Depth 5
	s_and_saveexec_b64 s[16:17], s[4:5]
	s_cbranch_execz .LBB1_45
; %bb.47:                               ;   in Loop: Header=BB1_46 Depth=3
	v_add_u32_e32 v11, s45, v2
	v_ashrrev_i32_e32 v12, 31, v11
	v_mul_lo_u32 v13, v11, s15
	v_mul_hi_u32 v14, v11, s14
	v_add_u32_e32 v13, v14, v13
	v_mul_lo_u32 v12, v12, s14
	v_add_u32_e32 v13, v13, v12
	v_mul_lo_u32 v12, v11, s14
	v_lshlrev_b64 v[12:13], 2, v[12:13]
	v_mov_b32_e32 v14, s44
	v_add_co_u32_e32 v11, vcc, s43, v12
	v_addc_co_u32_e32 v12, vcc, v14, v13, vcc
	s_mov_b32 s46, 0
	s_mov_b64 s[26:27], 0
	s_branch .LBB1_49
.LBB1_48:                               ;   in Loop: Header=BB1_49 Depth=4
	s_or_b64 exec, exec, s[28:29]
	s_add_i32 s46, s46, 1
	v_cmp_ge_i32_e32 vcc, s46, v3
	s_or_b64 s[26:27], vcc, s[26:27]
	s_andn2_b64 exec, exec, s[26:27]
	s_cbranch_execz .LBB1_44
.LBB1_49:                               ;   Parent Loop BB1_15 Depth=1
                                        ;     Parent Loop BB1_30 Depth=2
                                        ;       Parent Loop BB1_46 Depth=3
                                        ; =>      This Loop Header: Depth=4
                                        ;           Child Loop BB1_51 Depth 5
	s_and_saveexec_b64 s[28:29], s[6:7]
	s_cbranch_execz .LBB1_48
; %bb.50:                               ;   in Loop: Header=BB1_49 Depth=4
	v_add_u32_e32 v13, s46, v6
	v_ashrrev_i32_e32 v14, 31, v13
	v_mul_lo_u32 v21, v14, s20
	v_mul_lo_u32 v22, v13, s21
	v_mad_u64_u32 v[14:15], s[30:31], v13, s20, 0
	v_add3_u32 v15, v15, v22, v21
	v_lshlrev_b64 v[14:15], 2, v[14:15]
	v_add_co_u32_e32 v13, vcc, v11, v14
	v_addc_co_u32_e32 v14, vcc, v12, v15, vcc
	s_mov_b32 s47, 0
	s_mov_b64 s[30:31], 0
.LBB1_51:                               ;   Parent Loop BB1_15 Depth=1
                                        ;     Parent Loop BB1_30 Depth=2
                                        ;       Parent Loop BB1_46 Depth=3
                                        ;         Parent Loop BB1_49 Depth=4
                                        ; =>        This Inner Loop Header: Depth=5
	v_add_u32_e32 v15, s47, v8
	v_ashrrev_i32_e32 v21, 31, v15
	v_mul_lo_u32 v24, v15, s23
	v_mad_u64_u32 v[22:23], s[48:49], v15, s22, 0
	v_mul_lo_u32 v15, v21, s22
	v_add3_u32 v23, v23, v24, v15
	v_lshlrev_b64 v[22:23], 2, v[22:23]
	v_add_co_u32_e32 v22, vcc, v13, v22
	v_addc_co_u32_e32 v23, vcc, v14, v23, vcc
	global_load_dword v15, v[22:23], off
	s_add_i32 s47, s47, 1
	v_cmp_ge_i32_e32 vcc, s47, v10
	s_or_b64 s[30:31], vcc, s[30:31]
	s_waitcnt vmcnt(0)
	v_add_f32_e32 v9, v9, v15
	s_andn2_b64 exec, exec, s[30:31]
	s_cbranch_execnz .LBB1_51
; %bb.52:                               ;   in Loop: Header=BB1_49 Depth=4
	s_or_b64 exec, exec, s[30:31]
	s_branch .LBB1_48
.LBB1_53:
	s_endpgm
.LBB1_54:
                                        ; implicit-def: $sgpr26_sgpr27
	v_cvt_f32_u32_e32 v1, s8
	s_branch .LBB1_2
.LBB1_55:
                                        ; implicit-def: $vgpr2_vgpr3
	s_branch .LBB1_5
.LBB1_56:
                                        ; implicit-def: $vgpr6_vgpr7
	s_load_dword s16, s[4:5], 0x6c
	s_andn2_b64 vcc, exec, s[12:13]
	s_cbranch_vccz .LBB1_8
	s_branch .LBB1_9
.LBB1_57:
                                        ; implicit-def: $sgpr30_sgpr31
	s_load_dword s0, s[4:5], 0x64
	s_branch .LBB1_12
	.section	.rodata,"a",@progbits
	.p2align	6, 0x0
	.amdhsa_kernel _ZN2at6native12_GLOBAL__N_119adaptiveaveragepoolIffEEvPKT_PS3_iiiiiilllllll
		.amdhsa_group_segment_fixed_size 0
		.amdhsa_private_segment_fixed_size 0
		.amdhsa_kernarg_size 352
		.amdhsa_user_sgpr_count 6
		.amdhsa_user_sgpr_private_segment_buffer 1
		.amdhsa_user_sgpr_dispatch_ptr 0
		.amdhsa_user_sgpr_queue_ptr 0
		.amdhsa_user_sgpr_kernarg_segment_ptr 1
		.amdhsa_user_sgpr_dispatch_id 0
		.amdhsa_user_sgpr_flat_scratch_init 0
		.amdhsa_user_sgpr_kernarg_preload_length 0
		.amdhsa_user_sgpr_kernarg_preload_offset 0
		.amdhsa_user_sgpr_private_segment_size 0
		.amdhsa_uses_dynamic_stack 0
		.amdhsa_system_sgpr_private_segment_wavefront_offset 0
		.amdhsa_system_sgpr_workgroup_id_x 1
		.amdhsa_system_sgpr_workgroup_id_y 1
		.amdhsa_system_sgpr_workgroup_id_z 0
		.amdhsa_system_sgpr_workgroup_info 0
		.amdhsa_system_vgpr_workitem_id 1
		.amdhsa_next_free_vgpr 26
		.amdhsa_next_free_sgpr 50
		.amdhsa_accum_offset 28
		.amdhsa_reserve_vcc 1
		.amdhsa_reserve_flat_scratch 0
		.amdhsa_float_round_mode_32 0
		.amdhsa_float_round_mode_16_64 0
		.amdhsa_float_denorm_mode_32 3
		.amdhsa_float_denorm_mode_16_64 3
		.amdhsa_dx10_clamp 1
		.amdhsa_ieee_mode 1
		.amdhsa_fp16_overflow 0
		.amdhsa_tg_split 0
		.amdhsa_exception_fp_ieee_invalid_op 0
		.amdhsa_exception_fp_denorm_src 0
		.amdhsa_exception_fp_ieee_div_zero 0
		.amdhsa_exception_fp_ieee_overflow 0
		.amdhsa_exception_fp_ieee_underflow 0
		.amdhsa_exception_fp_ieee_inexact 0
		.amdhsa_exception_int_div_zero 0
	.end_amdhsa_kernel
	.section	.text._ZN2at6native12_GLOBAL__N_119adaptiveaveragepoolIffEEvPKT_PS3_iiiiiilllllll,"axG",@progbits,_ZN2at6native12_GLOBAL__N_119adaptiveaveragepoolIffEEvPKT_PS3_iiiiiilllllll,comdat
.Lfunc_end1:
	.size	_ZN2at6native12_GLOBAL__N_119adaptiveaveragepoolIffEEvPKT_PS3_iiiiiilllllll, .Lfunc_end1-_ZN2at6native12_GLOBAL__N_119adaptiveaveragepoolIffEEvPKT_PS3_iiiiiilllllll
                                        ; -- End function
	.section	.AMDGPU.csdata,"",@progbits
; Kernel info:
; codeLenInByte = 8116
; NumSgprs: 54
; NumVgprs: 26
; NumAgprs: 0
; TotalNumVgprs: 26
; ScratchSize: 0
; MemoryBound: 0
; FloatMode: 240
; IeeeMode: 1
; LDSByteSize: 0 bytes/workgroup (compile time only)
; SGPRBlocks: 6
; VGPRBlocks: 3
; NumSGPRsForWavesPerEU: 54
; NumVGPRsForWavesPerEU: 26
; AccumOffset: 28
; Occupancy: 8
; WaveLimiterHint : 0
; COMPUTE_PGM_RSRC2:SCRATCH_EN: 0
; COMPUTE_PGM_RSRC2:USER_SGPR: 6
; COMPUTE_PGM_RSRC2:TRAP_HANDLER: 0
; COMPUTE_PGM_RSRC2:TGID_X_EN: 1
; COMPUTE_PGM_RSRC2:TGID_Y_EN: 1
; COMPUTE_PGM_RSRC2:TGID_Z_EN: 0
; COMPUTE_PGM_RSRC2:TIDIG_COMP_CNT: 1
; COMPUTE_PGM_RSRC3_GFX90A:ACCUM_OFFSET: 6
; COMPUTE_PGM_RSRC3_GFX90A:TG_SPLIT: 0
	.section	.text._ZN2at6native12_GLOBAL__N_119adaptiveaveragepoolIN3c104HalfEfEEvPKT_PS5_iiiiiilllllll,"axG",@progbits,_ZN2at6native12_GLOBAL__N_119adaptiveaveragepoolIN3c104HalfEfEEvPKT_PS5_iiiiiilllllll,comdat
	.globl	_ZN2at6native12_GLOBAL__N_119adaptiveaveragepoolIN3c104HalfEfEEvPKT_PS5_iiiiiilllllll ; -- Begin function _ZN2at6native12_GLOBAL__N_119adaptiveaveragepoolIN3c104HalfEfEEvPKT_PS5_iiiiiilllllll
	.p2align	8
	.type	_ZN2at6native12_GLOBAL__N_119adaptiveaveragepoolIN3c104HalfEfEEvPKT_PS5_iiiiiilllllll,@function
_ZN2at6native12_GLOBAL__N_119adaptiveaveragepoolIN3c104HalfEfEEvPKT_PS5_iiiiiilllllll: ; @_ZN2at6native12_GLOBAL__N_119adaptiveaveragepoolIN3c104HalfEfEEvPKT_PS5_iiiiiilllllll
; %bb.0:
	s_load_dwordx2 s[0:1], s[4:5], 0x58
	s_load_dwordx4 s[16:19], s[4:5], 0x10
	s_load_dwordx2 s[24:25], s[4:5], 0x20
	s_mov_b32 s10, 0
	s_waitcnt lgkmcnt(0)
	s_add_u32 s2, s6, s0
	s_addc_u32 s3, 0, s1
	s_ashr_i32 s9, s19, 31
	s_mov_b32 s8, s19
	s_or_b64 s[0:1], s[2:3], s[8:9]
	s_mov_b32 s11, s1
	s_cmp_lg_u64 s[10:11], 0
	s_cbranch_scc0 .LBB2_54
; %bb.1:
	s_add_u32 s0, s8, s9
	s_mov_b32 s12, s9
	s_mov_b32 s13, s9
	s_addc_u32 s1, s9, s9
	s_xor_b64 s[14:15], s[0:1], s[12:13]
	v_cvt_f32_u32_e32 v1, s14
	v_cvt_f32_u32_e32 v2, s15
	s_sub_u32 s0, 0, s14
	s_subb_u32 s1, 0, s15
	v_madmk_f32 v1, v2, 0x4f800000, v1
	v_rcp_f32_e32 v1, v1
	v_mul_f32_e32 v1, 0x5f7ffffc, v1
	v_mul_f32_e32 v2, 0x2f800000, v1
	v_trunc_f32_e32 v2, v2
	v_madmk_f32 v1, v2, 0xcf800000, v1
	v_cvt_u32_f32_e32 v2, v2
	v_cvt_u32_f32_e32 v1, v1
	v_readfirstlane_b32 s6, v2
	v_readfirstlane_b32 s19, v1
	s_mul_i32 s20, s0, s6
	s_mul_hi_u32 s22, s0, s19
	s_mul_i32 s21, s1, s19
	s_add_i32 s20, s22, s20
	s_add_i32 s20, s20, s21
	s_mul_i32 s23, s0, s19
	s_mul_hi_u32 s21, s19, s20
	s_mul_i32 s22, s19, s20
	s_mul_hi_u32 s19, s19, s23
	s_add_u32 s19, s19, s22
	s_addc_u32 s21, 0, s21
	s_mul_hi_u32 s26, s6, s23
	s_mul_i32 s23, s6, s23
	s_add_u32 s19, s19, s23
	s_mul_hi_u32 s22, s6, s20
	s_addc_u32 s19, s21, s26
	s_addc_u32 s21, s22, 0
	s_mul_i32 s20, s6, s20
	s_add_u32 s19, s19, s20
	s_addc_u32 s20, 0, s21
	v_add_co_u32_e32 v1, vcc, s19, v1
	s_cmp_lg_u64 vcc, 0
	s_addc_u32 s6, s6, s20
	v_readfirstlane_b32 s20, v1
	s_mul_i32 s19, s0, s6
	s_mul_hi_u32 s21, s0, s20
	s_add_i32 s19, s21, s19
	s_mul_i32 s1, s1, s20
	s_add_i32 s19, s19, s1
	s_mul_i32 s0, s0, s20
	s_mul_hi_u32 s21, s6, s0
	s_mul_i32 s22, s6, s0
	s_mul_i32 s26, s20, s19
	s_mul_hi_u32 s0, s20, s0
	s_mul_hi_u32 s23, s20, s19
	s_add_u32 s0, s0, s26
	s_addc_u32 s20, 0, s23
	s_add_u32 s0, s0, s22
	s_mul_hi_u32 s1, s6, s19
	s_addc_u32 s0, s20, s21
	s_addc_u32 s1, s1, 0
	s_mul_i32 s19, s6, s19
	s_add_u32 s0, s0, s19
	s_addc_u32 s1, 0, s1
	v_add_co_u32_e32 v1, vcc, s0, v1
	s_cmp_lg_u64 vcc, 0
	s_addc_u32 s6, s6, s1
	s_ashr_i32 s20, s3, 31
	s_add_u32 s0, s2, s20
	s_mov_b32 s21, s20
	s_addc_u32 s1, s3, s20
	s_xor_b64 s[22:23], s[0:1], s[20:21]
	v_readfirstlane_b32 s19, v1
	s_mul_i32 s1, s22, s6
	s_mul_hi_u32 s26, s22, s19
	s_mul_hi_u32 s0, s22, s6
	s_add_u32 s1, s26, s1
	s_addc_u32 s0, 0, s0
	s_mul_hi_u32 s27, s23, s19
	s_mul_i32 s19, s23, s19
	s_add_u32 s1, s1, s19
	s_mul_hi_u32 s26, s23, s6
	s_addc_u32 s0, s0, s27
	s_addc_u32 s1, s26, 0
	s_mul_i32 s6, s23, s6
	s_add_u32 s6, s0, s6
	s_addc_u32 s19, 0, s1
	s_mul_i32 s0, s14, s19
	s_mul_hi_u32 s1, s14, s6
	s_add_i32 s0, s1, s0
	s_mul_i32 s1, s15, s6
	s_add_i32 s26, s0, s1
	s_mul_i32 s1, s14, s6
	v_mov_b32_e32 v1, s1
	s_sub_i32 s0, s23, s26
	v_sub_co_u32_e32 v1, vcc, s22, v1
	s_cmp_lg_u64 vcc, 0
	s_subb_u32 s22, s0, s15
	v_subrev_co_u32_e64 v2, s[0:1], s14, v1
	s_cmp_lg_u64 s[0:1], 0
	s_subb_u32 s0, s22, 0
	s_cmp_ge_u32 s0, s15
	v_readfirstlane_b32 s22, v2
	s_cselect_b32 s1, -1, 0
	s_cmp_ge_u32 s22, s14
	s_cselect_b32 s22, -1, 0
	s_cmp_eq_u32 s0, s15
	s_cselect_b32 s0, s22, s1
	s_add_u32 s1, s6, 1
	s_addc_u32 s22, s19, 0
	s_add_u32 s27, s6, 2
	s_addc_u32 s28, s19, 0
	s_cmp_lg_u32 s0, 0
	s_cselect_b32 s0, s27, s1
	s_cselect_b32 s1, s28, s22
	s_cmp_lg_u64 vcc, 0
	s_subb_u32 s22, s23, s26
	s_cmp_ge_u32 s22, s15
	v_readfirstlane_b32 s26, v1
	s_cselect_b32 s23, -1, 0
	s_cmp_ge_u32 s26, s14
	s_cselect_b32 s14, -1, 0
	s_cmp_eq_u32 s22, s15
	s_cselect_b32 s14, s14, s23
	s_cmp_lg_u32 s14, 0
	s_cselect_b32 s1, s1, s19
	s_cselect_b32 s0, s0, s6
	s_xor_b64 s[12:13], s[20:21], s[12:13]
	s_xor_b64 s[0:1], s[0:1], s[12:13]
	s_sub_u32 s26, s0, s12
	s_subb_u32 s27, s1, s13
	v_cvt_f32_u32_e32 v1, s8
	s_cbranch_execnz .LBB2_3
.LBB2_2:
	v_rcp_iflag_f32_e32 v2, v1
	s_sub_i32 s0, 0, s8
	s_mov_b32 s27, 0
	v_mul_f32_e32 v2, 0x4f7ffffe, v2
	v_cvt_u32_f32_e32 v2, v2
	v_readfirstlane_b32 s1, v2
	s_mul_i32 s0, s0, s1
	s_mul_hi_u32 s0, s1, s0
	s_add_i32 s1, s1, s0
	s_mul_hi_u32 s0, s2, s1
	s_mul_i32 s6, s0, s8
	s_sub_i32 s6, s2, s6
	s_add_i32 s1, s0, 1
	s_sub_i32 s10, s6, s8
	s_cmp_ge_u32 s6, s8
	s_cselect_b32 s0, s1, s0
	s_cselect_b32 s6, s10, s6
	s_add_i32 s1, s0, 1
	s_cmp_ge_u32 s6, s8
	s_cselect_b32 s26, s1, s0
.LBB2_3:
	s_mul_i32 s0, s26, s9
	s_mul_hi_u32 s1, s26, s8
	s_add_i32 s0, s1, s0
	s_mul_i32 s1, s27, s8
	s_add_i32 s0, s0, s1
	s_mul_i32 s1, s26, s8
	s_sub_u32 s1, s2, s1
	s_subb_u32 s0, s3, s0
	s_ashr_i32 s6, s16, 31
	s_mul_i32 s10, s1, s6
	s_mul_hi_u32 s11, s1, s16
	s_add_i32 s10, s11, s10
	s_mul_i32 s0, s0, s16
	s_add_i32 s11, s10, s0
	s_mul_i32 s10, s1, s16
	s_or_b64 s[0:1], s[10:11], s[8:9]
	s_mov_b32 s0, 0
	s_cmp_lg_u64 s[0:1], 0
	s_cbranch_scc0 .LBB2_55
; %bb.4:
	s_add_u32 s0, s8, s9
	s_mov_b32 s12, s9
	s_mov_b32 s13, s9
	s_addc_u32 s1, s9, s9
	s_xor_b64 s[20:21], s[0:1], s[12:13]
	v_cvt_f32_u32_e32 v2, s20
	v_cvt_f32_u32_e32 v3, s21
	s_sub_u32 s0, 0, s20
	s_subb_u32 s1, 0, s21
	v_madmk_f32 v2, v3, 0x4f800000, v2
	v_rcp_f32_e32 v2, v2
	v_mul_f32_e32 v2, 0x5f7ffffc, v2
	v_mul_f32_e32 v3, 0x2f800000, v2
	v_trunc_f32_e32 v3, v3
	v_madmk_f32 v2, v3, 0xcf800000, v2
	v_cvt_u32_f32_e32 v3, v3
	v_cvt_u32_f32_e32 v2, v2
	v_readfirstlane_b32 s19, v3
	v_readfirstlane_b32 s22, v2
	s_mul_i32 s23, s0, s19
	s_mul_hi_u32 s29, s0, s22
	s_mul_i32 s28, s1, s22
	s_add_i32 s23, s29, s23
	s_add_i32 s23, s23, s28
	s_mul_i32 s30, s0, s22
	s_mul_hi_u32 s28, s22, s23
	s_mul_i32 s29, s22, s23
	s_mul_hi_u32 s22, s22, s30
	s_add_u32 s22, s22, s29
	s_addc_u32 s28, 0, s28
	s_mul_hi_u32 s31, s19, s30
	s_mul_i32 s30, s19, s30
	s_add_u32 s22, s22, s30
	s_mul_hi_u32 s29, s19, s23
	s_addc_u32 s22, s28, s31
	s_addc_u32 s28, s29, 0
	s_mul_i32 s23, s19, s23
	s_add_u32 s22, s22, s23
	s_addc_u32 s23, 0, s28
	v_add_co_u32_e32 v2, vcc, s22, v2
	s_cmp_lg_u64 vcc, 0
	s_addc_u32 s19, s19, s23
	v_readfirstlane_b32 s23, v2
	s_mul_i32 s22, s0, s19
	s_mul_hi_u32 s28, s0, s23
	s_add_i32 s22, s28, s22
	s_mul_i32 s1, s1, s23
	s_add_i32 s22, s22, s1
	s_mul_i32 s0, s0, s23
	s_mul_hi_u32 s28, s19, s0
	s_mul_i32 s29, s19, s0
	s_mul_i32 s31, s23, s22
	s_mul_hi_u32 s0, s23, s0
	s_mul_hi_u32 s30, s23, s22
	s_add_u32 s0, s0, s31
	s_addc_u32 s23, 0, s30
	s_add_u32 s0, s0, s29
	s_mul_hi_u32 s1, s19, s22
	s_addc_u32 s0, s23, s28
	s_addc_u32 s1, s1, 0
	s_mul_i32 s22, s19, s22
	s_add_u32 s0, s0, s22
	s_addc_u32 s1, 0, s1
	v_add_co_u32_e32 v2, vcc, s0, v2
	s_cmp_lg_u64 vcc, 0
	s_addc_u32 s19, s19, s1
	s_ashr_i32 s22, s11, 31
	s_add_u32 s0, s10, s22
	s_mov_b32 s23, s22
	s_addc_u32 s1, s11, s22
	s_xor_b64 s[28:29], s[0:1], s[22:23]
	v_readfirstlane_b32 s30, v2
	s_mul_i32 s1, s28, s19
	s_mul_hi_u32 s31, s28, s30
	s_mul_hi_u32 s0, s28, s19
	s_add_u32 s1, s31, s1
	s_addc_u32 s0, 0, s0
	s_mul_hi_u32 s33, s29, s30
	s_mul_i32 s30, s29, s30
	s_add_u32 s1, s1, s30
	s_mul_hi_u32 s31, s29, s19
	s_addc_u32 s0, s0, s33
	s_addc_u32 s1, s31, 0
	s_mul_i32 s19, s29, s19
	s_add_u32 s19, s0, s19
	s_addc_u32 s0, 0, s1
	s_mul_i32 s0, s20, s0
	s_mul_hi_u32 s1, s20, s19
	s_add_i32 s0, s1, s0
	s_mul_i32 s1, s21, s19
	s_add_i32 s30, s0, s1
	s_mul_i32 s1, s20, s19
	v_mov_b32_e32 v2, s1
	s_sub_i32 s0, s29, s30
	v_sub_co_u32_e32 v2, vcc, s28, v2
	s_cmp_lg_u64 vcc, 0
	s_subb_u32 s28, s0, s21
	v_subrev_co_u32_e64 v3, s[0:1], s20, v2
	s_cmp_lg_u64 s[0:1], 0
	s_subb_u32 s28, s28, 0
	s_cmp_ge_u32 s28, s21
	s_cselect_b32 s31, -1, 0
	v_cmp_le_u32_e64 s[0:1], s20, v3
	s_cmp_eq_u32 s28, s21
	v_cndmask_b32_e64 v3, 0, -1, s[0:1]
	v_mov_b32_e32 v4, s31
	s_cselect_b64 s[0:1], -1, 0
	v_cndmask_b32_e64 v3, v4, v3, s[0:1]
	s_add_u32 s0, s19, 1
	s_add_u32 s1, s19, 2
	v_mov_b32_e32 v4, s0
	v_mov_b32_e32 v5, s1
	v_cmp_ne_u32_e64 s[0:1], 0, v3
	s_cmp_lg_u64 vcc, 0
	v_cndmask_b32_e64 v3, v4, v5, s[0:1]
	s_subb_u32 s0, s29, s30
	s_cmp_ge_u32 s0, s21
	s_cselect_b32 s1, -1, 0
	v_cmp_le_u32_e32 vcc, s20, v2
	s_cmp_eq_u32 s0, s21
	v_cndmask_b32_e64 v2, 0, -1, vcc
	v_mov_b32_e32 v4, s1
	s_cselect_b64 vcc, -1, 0
	v_cndmask_b32_e32 v2, v4, v2, vcc
	v_mov_b32_e32 v4, s19
	v_cmp_ne_u32_e32 vcc, 0, v2
	v_cndmask_b32_e32 v2, v4, v3, vcc
	s_xor_b64 s[0:1], s[22:23], s[12:13]
	v_xor_b32_e32 v2, s0, v2
	v_subrev_co_u32_e32 v2, vcc, s0, v2
	s_cbranch_execnz .LBB2_6
.LBB2_5:
	v_rcp_iflag_f32_e32 v2, v1
	s_sub_i32 s0, 0, s8
	v_mul_f32_e32 v2, 0x4f7ffffe, v2
	v_cvt_u32_f32_e32 v2, v2
	v_mul_lo_u32 v3, s0, v2
	v_mul_hi_u32 v3, v2, v3
	v_add_u32_e32 v2, v2, v3
	v_mul_hi_u32 v2, s10, v2
	v_mul_lo_u32 v4, v2, s8
	v_sub_u32_e32 v4, s10, v4
	v_add_u32_e32 v3, 1, v2
	v_subrev_u32_e32 v5, s8, v4
	v_cmp_le_u32_e32 vcc, s8, v4
	v_cndmask_b32_e32 v4, v4, v5, vcc
	v_cndmask_b32_e32 v2, v2, v3, vcc
	v_add_u32_e32 v3, 1, v2
	v_cmp_le_u32_e32 vcc, s8, v4
	v_cndmask_b32_e32 v2, v2, v3, vcc
.LBB2_6:
	s_add_u32 s0, s10, s16
	s_addc_u32 s1, s11, s6
	s_add_u32 s10, s0, -1
	s_addc_u32 s11, s1, -1
	s_or_b64 s[0:1], s[10:11], s[8:9]
	s_mov_b32 s0, 0
	s_cmp_lg_u64 s[0:1], 0
	s_mov_b64 s[12:13], -1
	s_cbranch_scc0 .LBB2_56
; %bb.7:
	s_add_u32 s0, s8, s9
	s_mov_b32 s14, s9
	s_mov_b32 s15, s9
	s_addc_u32 s1, s9, s9
	s_xor_b64 s[20:21], s[0:1], s[14:15]
	v_cvt_f32_u32_e32 v3, s20
	v_cvt_f32_u32_e32 v4, s21
	s_sub_u32 s0, 0, s20
	s_subb_u32 s1, 0, s21
	v_madmk_f32 v3, v4, 0x4f800000, v3
	v_rcp_f32_e32 v3, v3
	v_mul_f32_e32 v3, 0x5f7ffffc, v3
	v_mul_f32_e32 v4, 0x2f800000, v3
	v_trunc_f32_e32 v4, v4
	v_madmk_f32 v3, v4, 0xcf800000, v3
	v_cvt_u32_f32_e32 v4, v4
	v_cvt_u32_f32_e32 v3, v3
	v_readfirstlane_b32 s6, v4
	v_readfirstlane_b32 s9, v3
	s_mul_i32 s16, s0, s6
	s_mul_hi_u32 s22, s0, s9
	s_mul_i32 s19, s1, s9
	s_add_i32 s16, s22, s16
	s_add_i32 s16, s16, s19
	s_mul_i32 s23, s0, s9
	s_mul_hi_u32 s19, s9, s16
	s_mul_i32 s22, s9, s16
	s_mul_hi_u32 s9, s9, s23
	s_add_u32 s9, s9, s22
	s_addc_u32 s19, 0, s19
	s_mul_hi_u32 s28, s6, s23
	s_mul_i32 s23, s6, s23
	s_add_u32 s9, s9, s23
	s_mul_hi_u32 s22, s6, s16
	s_addc_u32 s9, s19, s28
	s_addc_u32 s19, s22, 0
	s_mul_i32 s16, s6, s16
	s_add_u32 s9, s9, s16
	s_addc_u32 s16, 0, s19
	v_add_co_u32_e32 v3, vcc, s9, v3
	s_cmp_lg_u64 vcc, 0
	s_addc_u32 s6, s6, s16
	v_readfirstlane_b32 s16, v3
	s_mul_i32 s9, s0, s6
	s_mul_hi_u32 s19, s0, s16
	s_add_i32 s9, s19, s9
	s_mul_i32 s1, s1, s16
	s_add_i32 s9, s9, s1
	s_mul_i32 s0, s0, s16
	s_mul_hi_u32 s19, s6, s0
	s_mul_i32 s22, s6, s0
	s_mul_i32 s28, s16, s9
	s_mul_hi_u32 s0, s16, s0
	s_mul_hi_u32 s23, s16, s9
	s_add_u32 s0, s0, s28
	s_addc_u32 s16, 0, s23
	s_add_u32 s0, s0, s22
	s_mul_hi_u32 s1, s6, s9
	s_addc_u32 s0, s16, s19
	s_addc_u32 s1, s1, 0
	s_mul_i32 s9, s6, s9
	s_add_u32 s0, s0, s9
	s_addc_u32 s1, 0, s1
	v_add_co_u32_e32 v3, vcc, s0, v3
	s_cmp_lg_u64 vcc, 0
	s_addc_u32 s6, s6, s1
	s_ashr_i32 s22, s11, 31
	s_add_u32 s0, s10, s22
	s_mov_b32 s23, s22
	s_addc_u32 s1, s11, s22
	s_xor_b64 s[28:29], s[0:1], s[22:23]
	v_readfirstlane_b32 s9, v3
	s_mul_i32 s1, s28, s6
	s_mul_hi_u32 s11, s28, s9
	s_mul_hi_u32 s0, s28, s6
	s_add_u32 s1, s11, s1
	s_addc_u32 s0, 0, s0
	s_mul_hi_u32 s16, s29, s9
	s_mul_i32 s9, s29, s9
	s_add_u32 s1, s1, s9
	s_mul_hi_u32 s11, s29, s6
	s_addc_u32 s0, s0, s16
	s_addc_u32 s1, s11, 0
	s_mul_i32 s6, s29, s6
	s_add_u32 s6, s0, s6
	s_addc_u32 s0, 0, s1
	s_mul_i32 s0, s20, s0
	s_mul_hi_u32 s1, s20, s6
	s_add_i32 s0, s1, s0
	s_mul_i32 s1, s21, s6
	s_add_i32 s9, s0, s1
	s_mul_i32 s1, s20, s6
	v_mov_b32_e32 v3, s1
	s_sub_i32 s0, s29, s9
	v_sub_co_u32_e32 v3, vcc, s28, v3
	s_cmp_lg_u64 vcc, 0
	s_subb_u32 s11, s0, s21
	v_subrev_co_u32_e64 v4, s[0:1], s20, v3
	s_cmp_lg_u64 s[0:1], 0
	s_subb_u32 s11, s11, 0
	s_cmp_ge_u32 s11, s21
	s_cselect_b32 s16, -1, 0
	v_cmp_le_u32_e64 s[0:1], s20, v4
	s_cmp_eq_u32 s11, s21
	v_cndmask_b32_e64 v4, 0, -1, s[0:1]
	v_mov_b32_e32 v5, s16
	s_cselect_b64 s[0:1], -1, 0
	v_cndmask_b32_e64 v4, v5, v4, s[0:1]
	s_add_u32 s0, s6, 1
	s_add_u32 s1, s6, 2
	v_mov_b32_e32 v5, s0
	v_mov_b32_e32 v6, s1
	v_cmp_ne_u32_e64 s[0:1], 0, v4
	s_cmp_lg_u64 vcc, 0
	v_cndmask_b32_e64 v4, v5, v6, s[0:1]
	s_subb_u32 s0, s29, s9
	s_cmp_ge_u32 s0, s21
	s_cselect_b32 s1, -1, 0
	v_cmp_le_u32_e32 vcc, s20, v3
	s_cmp_eq_u32 s0, s21
	v_cndmask_b32_e64 v3, 0, -1, vcc
	v_mov_b32_e32 v5, s1
	s_cselect_b64 vcc, -1, 0
	v_cndmask_b32_e32 v3, v5, v3, vcc
	v_mov_b32_e32 v5, s6
	v_cmp_ne_u32_e32 vcc, 0, v3
	v_cndmask_b32_e32 v3, v5, v4, vcc
	s_xor_b64 s[0:1], s[22:23], s[14:15]
	v_xor_b32_e32 v3, s0, v3
	v_subrev_co_u32_e32 v6, vcc, s0, v3
	s_load_dword s16, s[4:5], 0x6c
	s_cbranch_execnz .LBB2_9
.LBB2_8:
	v_rcp_iflag_f32_e32 v1, v1
	s_sub_i32 s0, 0, s8
	v_mul_f32_e32 v1, 0x4f7ffffe, v1
	v_cvt_u32_f32_e32 v1, v1
	v_mul_lo_u32 v3, s0, v1
	v_mul_hi_u32 v3, v1, v3
	v_add_u32_e32 v1, v1, v3
	v_mul_hi_u32 v1, s10, v1
	v_mul_lo_u32 v4, v1, s8
	v_sub_u32_e32 v4, s10, v4
	v_add_u32_e32 v3, 1, v1
	v_subrev_u32_e32 v5, s8, v4
	v_cmp_le_u32_e32 vcc, s8, v4
	v_cndmask_b32_e32 v4, v4, v5, vcc
	v_cndmask_b32_e32 v1, v1, v3, vcc
	v_add_u32_e32 v3, 1, v1
	v_cmp_le_u32_e32 vcc, s8, v4
	v_cndmask_b32_e32 v6, v1, v3, vcc
.LBB2_9:
	s_waitcnt lgkmcnt(0)
	s_lshr_b32 s38, s16, 16
	s_mul_i32 s7, s7, s38
	v_bfe_u32 v1, v0, 10, 10
	v_add_u32_e32 v4, s7, v1
	v_cmp_gt_i32_e32 vcc, s24, v4
	s_and_saveexec_b64 s[0:1], vcc
	s_cbranch_execz .LBB2_53
; %bb.10:
	s_load_dwordx8 s[8:15], s[4:5], 0x28
	s_load_dwordx4 s[20:23], s[4:5], 0x48
	s_bfe_i64 s[28:29], s[26:27], 0x200000
	s_mov_b32 s0, 0
	s_waitcnt lgkmcnt(0)
	s_or_b64 s[6:7], s[28:29], s[8:9]
	s_mov_b32 s1, s7
	s_cmp_lg_u64 s[0:1], 0
	s_cbranch_scc0 .LBB2_57
; %bb.11:
	s_ashr_i32 s30, s9, 31
	s_add_u32 s0, s8, s30
	s_mov_b32 s31, s30
	s_addc_u32 s1, s9, s30
	s_xor_b64 s[34:35], s[0:1], s[30:31]
	v_cvt_f32_u32_e32 v1, s34
	v_cvt_f32_u32_e32 v3, s35
	s_sub_u32 s0, 0, s34
	s_subb_u32 s1, 0, s35
	v_madmk_f32 v1, v3, 0x4f800000, v1
	v_rcp_f32_e32 v1, v1
	v_mul_f32_e32 v1, 0x5f7ffffc, v1
	v_mul_f32_e32 v3, 0x2f800000, v1
	v_trunc_f32_e32 v3, v3
	v_madmk_f32 v1, v3, 0xcf800000, v1
	v_cvt_u32_f32_e32 v3, v3
	v_cvt_u32_f32_e32 v1, v1
	v_readfirstlane_b32 s19, v3
	v_readfirstlane_b32 s27, v1
	s_mul_i32 s33, s0, s19
	s_mul_hi_u32 s37, s0, s27
	s_mul_i32 s36, s1, s27
	s_add_i32 s33, s37, s33
	s_add_i32 s33, s33, s36
	s_mul_i32 s39, s0, s27
	s_mul_hi_u32 s36, s27, s33
	s_mul_i32 s37, s27, s33
	s_mul_hi_u32 s27, s27, s39
	s_add_u32 s27, s27, s37
	s_addc_u32 s36, 0, s36
	s_mul_hi_u32 s40, s19, s39
	s_mul_i32 s39, s19, s39
	s_add_u32 s27, s27, s39
	s_mul_hi_u32 s37, s19, s33
	s_addc_u32 s27, s36, s40
	s_addc_u32 s36, s37, 0
	s_mul_i32 s33, s19, s33
	s_add_u32 s27, s27, s33
	s_addc_u32 s33, 0, s36
	v_add_co_u32_e32 v1, vcc, s27, v1
	s_cmp_lg_u64 vcc, 0
	s_addc_u32 s19, s19, s33
	v_readfirstlane_b32 s33, v1
	s_mul_i32 s27, s0, s19
	s_mul_hi_u32 s36, s0, s33
	s_add_i32 s27, s36, s27
	s_mul_i32 s1, s1, s33
	s_add_i32 s27, s27, s1
	s_mul_i32 s0, s0, s33
	s_mul_hi_u32 s36, s19, s0
	s_mul_i32 s37, s19, s0
	s_mul_i32 s40, s33, s27
	s_mul_hi_u32 s0, s33, s0
	s_mul_hi_u32 s39, s33, s27
	s_add_u32 s0, s0, s40
	s_addc_u32 s33, 0, s39
	s_add_u32 s0, s0, s37
	s_mul_hi_u32 s1, s19, s27
	s_addc_u32 s0, s33, s36
	s_addc_u32 s1, s1, 0
	s_mul_i32 s27, s19, s27
	s_add_u32 s0, s0, s27
	s_addc_u32 s1, 0, s1
	v_add_co_u32_e32 v1, vcc, s0, v1
	s_cmp_lg_u64 vcc, 0
	s_addc_u32 s19, s19, s1
	s_add_u32 s0, s28, s29
	s_mov_b32 s36, s29
	s_mov_b32 s37, s29
	s_addc_u32 s1, s29, s29
	s_xor_b64 s[40:41], s[0:1], s[36:37]
	v_readfirstlane_b32 s27, v1
	s_mul_i32 s1, s40, s19
	s_mul_hi_u32 s33, s40, s27
	s_mul_hi_u32 s0, s40, s19
	s_add_u32 s1, s33, s1
	s_addc_u32 s0, 0, s0
	s_mul_hi_u32 s39, s41, s27
	s_mul_i32 s27, s41, s27
	s_add_u32 s1, s1, s27
	s_mul_hi_u32 s33, s41, s19
	s_addc_u32 s0, s0, s39
	s_addc_u32 s1, s33, 0
	s_mul_i32 s19, s41, s19
	s_add_u32 s19, s0, s19
	s_addc_u32 s27, 0, s1
	s_mul_i32 s0, s34, s27
	s_mul_hi_u32 s1, s34, s19
	s_add_i32 s0, s1, s0
	s_mul_i32 s1, s35, s19
	s_add_i32 s33, s0, s1
	s_mul_i32 s1, s34, s19
	v_mov_b32_e32 v1, s1
	s_sub_i32 s0, s41, s33
	v_sub_co_u32_e32 v1, vcc, s40, v1
	s_cmp_lg_u64 vcc, 0
	s_subb_u32 s39, s0, s35
	v_subrev_co_u32_e64 v3, s[0:1], s34, v1
	s_cmp_lg_u64 s[0:1], 0
	s_subb_u32 s0, s39, 0
	s_cmp_ge_u32 s0, s35
	v_readfirstlane_b32 s39, v3
	s_cselect_b32 s1, -1, 0
	s_cmp_ge_u32 s39, s34
	s_cselect_b32 s39, -1, 0
	s_cmp_eq_u32 s0, s35
	s_cselect_b32 s0, s39, s1
	s_add_u32 s1, s19, 1
	s_addc_u32 s39, s27, 0
	s_add_u32 s40, s19, 2
	s_addc_u32 s42, s27, 0
	s_cmp_lg_u32 s0, 0
	s_cselect_b32 s0, s40, s1
	s_cselect_b32 s1, s42, s39
	s_cmp_lg_u64 vcc, 0
	s_subb_u32 s33, s41, s33
	s_cmp_ge_u32 s33, s35
	v_readfirstlane_b32 s40, v1
	s_cselect_b32 s39, -1, 0
	s_cmp_ge_u32 s40, s34
	s_cselect_b32 s34, -1, 0
	s_cmp_eq_u32 s33, s35
	s_cselect_b32 s33, s34, s39
	s_cmp_lg_u32 s33, 0
	s_cselect_b32 s1, s1, s27
	s_cselect_b32 s0, s0, s19
	s_xor_b64 s[30:31], s[36:37], s[30:31]
	s_xor_b64 s[0:1], s[0:1], s[30:31]
	s_sub_u32 s30, s0, s30
	s_subb_u32 s31, s1, s31
	s_load_dword s0, s[4:5], 0x64
	s_cbranch_execnz .LBB2_13
.LBB2_12:
	v_cvt_f32_u32_e32 v1, s8
	s_sub_i32 s6, 0, s8
	s_mov_b32 s31, 0
	v_rcp_iflag_f32_e32 v1, v1
	v_mul_f32_e32 v1, 0x4f7ffffe, v1
	v_cvt_u32_f32_e32 v1, v1
	v_readfirstlane_b32 s7, v1
	s_mul_i32 s6, s6, s7
	s_mul_hi_u32 s6, s7, s6
	s_add_i32 s7, s7, s6
	s_mul_hi_u32 s6, s26, s7
	s_mul_i32 s19, s6, s8
	s_sub_i32 s1, s26, s19
	s_add_i32 s7, s6, 1
	s_sub_i32 s19, s1, s8
	s_cmp_ge_u32 s1, s8
	s_cselect_b32 s6, s7, s6
	s_cselect_b32 s1, s19, s1
	s_add_i32 s7, s6, 1
	s_cmp_ge_u32 s1, s8
	s_cselect_b32 s30, s7, s6
.LBB2_13:
	s_load_dwordx4 s[4:7], s[4:5], 0x0
	s_mul_i32 s26, s25, s24
	s_mul_hi_i32 s1, s25, s24
	s_mul_i32 s3, s26, s3
	s_mul_hi_u32 s27, s26, s2
	s_add_i32 s3, s27, s3
	s_mul_i32 s1, s1, s2
	s_add_i32 s3, s3, s1
	s_mul_i32 s2, s26, s2
	s_ashr_i32 s19, s24, 31
	s_ashr_i32 s34, s25, 31
	s_lshl_b64 s[2:3], s[2:3], 1
	s_mov_b32 s33, s24
	s_waitcnt lgkmcnt(0)
	s_add_u32 s36, s6, s2
	s_mul_i32 s38, s0, s38
	s_mul_i32 s0, s30, s9
	s_mul_hi_u32 s1, s30, s8
	s_addc_u32 s37, s7, s3
	v_and_b32_e32 v16, 0x3ff, v0
	s_add_i32 s0, s1, s0
	s_mul_i32 s1, s31, s8
	v_cvt_f32_u32_e32 v0, s33
	s_and_b32 s39, s16, 0xffff
	s_add_i32 s0, s0, s1
	s_mul_i32 s1, s30, s8
	s_sub_u32 s8, s28, s1
	s_subb_u32 s9, s29, s0
	s_bfe_i64 s[6:7], s[30:31], 0x200000
	s_mul_i32 s6, s30, s11
	s_mul_hi_u32 s11, s30, s10
	v_rcp_iflag_f32_e32 v0, v0
	s_add_i32 s6, s11, s6
	s_mul_i32 s7, s7, s10
	s_add_i32 s7, s6, s7
	s_mul_i32 s6, s30, s10
	s_mul_i32 s10, s8, s13
	s_mul_hi_u32 s11, s8, s12
	s_add_i32 s10, s11, s10
	s_mul_i32 s9, s9, s12
	s_ashr_i32 s40, s17, 31
	s_ashr_i32 s42, s18, 31
	s_add_i32 s9, s10, s9
	s_lshl_b64 s[6:7], s[6:7], 1
	v_mul_f32_e32 v0, 0x4f7ffffe, v0
	s_mul_i32 s8, s8, s12
	s_add_u32 s6, s4, s6
	v_cvt_u32_f32_e32 v17, v0
	v_sub_u32_e32 v1, v6, v2
	s_addc_u32 s7, s5, s7
	s_lshl_b64 s[4:5], s[8:9], 1
	v_add_u32_e32 v5, 1, v1
	s_brev_b32 s2, -2
	s_add_u32 s43, s6, s4
	s_mov_b32 s35, s25
	s_mov_b32 s41, s17
	v_cmp_gt_i32_e64 s[0:1], s25, v16
	v_cmp_gt_u32_e64 s[2:3], s2, v1
	s_addc_u32 s44, s7, s5
	v_max_i32_e32 v18, 1, v5
	s_mov_b64 s[8:9], 0
	v_mov_b32_e32 v1, 0
	s_branch .LBB2_15
.LBB2_14:                               ;   in Loop: Header=BB2_15 Depth=1
	s_or_b64 exec, exec, s[10:11]
	v_add_u32_e32 v4, s38, v4
	v_cmp_le_i32_e32 vcc, s24, v4
	s_or_b64 s[8:9], vcc, s[8:9]
	s_andn2_b64 exec, exec, s[8:9]
	s_cbranch_execz .LBB2_53
.LBB2_15:                               ; =>This Loop Header: Depth=1
                                        ;     Child Loop BB2_30 Depth 2
                                        ;       Child Loop BB2_46 Depth 3
                                        ;         Child Loop BB2_49 Depth 4
                                        ;           Child Loop BB2_51 Depth 5
	v_ashrrev_i32_e32 v3, 31, v4
	v_or_b32_e32 v7, s19, v3
	v_mov_b32_e32 v6, v1
	v_cmp_ne_u64_e32 vcc, 0, v[6:7]
                                        ; implicit-def: $vgpr6_vgpr7
	s_and_saveexec_b64 s[4:5], vcc
	s_xor_b64 s[4:5], exec, s[4:5]
	s_cbranch_execz .LBB2_17
; %bb.16:                               ;   in Loop: Header=BB2_15 Depth=1
	s_ashr_i32 s6, s33, 31
	s_add_i32 s7, s33, s6
	s_xor_b32 s7, s7, s6
	v_cvt_f32_u32_e32 v0, s7
	s_sub_i32 s10, 0, s7
	v_ashrrev_i32_e32 v6, 31, v4
	v_add_u32_e32 v7, v4, v6
	v_rcp_iflag_f32_e32 v0, v0
	v_xor_b32_e32 v7, v7, v6
	v_xor_b32_e32 v6, s6, v6
	v_mul_f32_e32 v0, 0x4f7ffffe, v0
	v_cvt_u32_f32_e32 v0, v0
	v_mul_lo_u32 v8, s10, v0
	v_mul_hi_u32 v8, v0, v8
	v_add_u32_e32 v0, v0, v8
	v_mul_hi_u32 v0, v7, v0
	v_mul_lo_u32 v8, v0, s7
	v_sub_u32_e32 v7, v7, v8
	v_add_u32_e32 v9, 1, v0
	v_subrev_u32_e32 v8, s7, v7
	v_cmp_le_u32_e32 vcc, s7, v7
	v_cndmask_b32_e32 v7, v7, v8, vcc
	v_cndmask_b32_e32 v0, v0, v9, vcc
	v_add_u32_e32 v8, 1, v0
	v_cmp_le_u32_e32 vcc, s7, v7
	v_cndmask_b32_e32 v0, v0, v8, vcc
	v_xor_b32_e32 v0, v0, v6
	v_sub_u32_e32 v6, v0, v6
	v_ashrrev_i32_e32 v7, 31, v6
.LBB2_17:                               ;   in Loop: Header=BB2_15 Depth=1
	s_andn2_saveexec_b64 s[4:5], s[4:5]
	s_cbranch_execz .LBB2_19
; %bb.18:                               ;   in Loop: Header=BB2_15 Depth=1
	s_sub_i32 s6, 0, s33
	v_mul_lo_u32 v0, s6, v17
	v_mul_hi_u32 v0, v17, v0
	v_add_u32_e32 v0, v17, v0
	v_mul_hi_u32 v0, v4, v0
	v_mul_lo_u32 v6, v0, s33
	v_sub_u32_e32 v6, v4, v6
	v_subrev_u32_e32 v7, s33, v6
	v_cmp_le_u32_e32 vcc, s33, v6
	v_cndmask_b32_e32 v6, v6, v7, vcc
	v_add_u32_e32 v7, 1, v0
	v_cndmask_b32_e32 v0, v0, v7, vcc
	v_add_u32_e32 v7, 1, v0
	v_cmp_le_u32_e32 vcc, s33, v6
	v_cndmask_b32_e32 v0, v0, v7, vcc
	v_pk_mov_b32 v[6:7], v[0:1], v[0:1] op_sel:[0,1]
.LBB2_19:                               ;   in Loop: Header=BB2_15 Depth=1
	s_or_b64 exec, exec, s[4:5]
	v_mul_lo_u32 v0, v7, s33
	v_mul_lo_u32 v7, v6, s19
	v_mad_u64_u32 v[8:9], s[4:5], v6, s33, 0
	v_add3_u32 v0, v9, v7, v0
	v_sub_co_u32_e32 v7, vcc, v4, v8
	v_subb_co_u32_e32 v0, vcc, v3, v0, vcc
	v_mul_lo_u32 v0, v0, s41
	v_mul_lo_u32 v8, v7, s40
	v_mad_u64_u32 v[10:11], s[4:5], v7, s41, 0
	v_add3_u32 v11, v11, v8, v0
	v_or_b32_e32 v9, s19, v11
	v_mov_b32_e32 v8, v1
	v_cmp_ne_u64_e32 vcc, 0, v[8:9]
                                        ; implicit-def: $vgpr8_vgpr9
	s_and_saveexec_b64 s[4:5], vcc
	s_xor_b64 s[6:7], exec, s[4:5]
	s_cbranch_execz .LBB2_21
; %bb.20:                               ;   in Loop: Header=BB2_15 Depth=1
	s_add_u32 s4, s33, s19
	s_mov_b32 s10, s19
	s_mov_b32 s11, s19
	s_addc_u32 s5, s19, s19
	s_xor_b64 s[12:13], s[4:5], s[10:11]
	v_cvt_f32_u32_e32 v0, s12
	v_cvt_f32_u32_e32 v7, s13
	s_sub_u32 s4, 0, s12
	s_subb_u32 s5, 0, s13
	v_mac_f32_e32 v0, 0x4f800000, v7
	v_rcp_f32_e32 v0, v0
	v_mul_f32_e32 v0, 0x5f7ffffc, v0
	v_mul_f32_e32 v7, 0x2f800000, v0
	v_trunc_f32_e32 v7, v7
	v_mac_f32_e32 v0, 0xcf800000, v7
	v_cvt_u32_f32_e32 v7, v7
	v_cvt_u32_f32_e32 v0, v0
	v_mul_lo_u32 v8, s4, v7
	v_mul_hi_u32 v12, s4, v0
	v_mul_lo_u32 v9, s5, v0
	v_add_u32_e32 v8, v12, v8
	v_mul_lo_u32 v13, s4, v0
	v_add_u32_e32 v8, v8, v9
	v_mul_lo_u32 v12, v0, v8
	v_mul_hi_u32 v14, v0, v13
	v_mul_hi_u32 v9, v0, v8
	v_add_co_u32_e32 v12, vcc, v14, v12
	v_addc_co_u32_e32 v9, vcc, 0, v9, vcc
	v_mul_hi_u32 v15, v7, v13
	v_mul_lo_u32 v13, v7, v13
	v_add_co_u32_e32 v12, vcc, v12, v13
	v_mul_hi_u32 v14, v7, v8
	v_addc_co_u32_e32 v9, vcc, v9, v15, vcc
	v_addc_co_u32_e32 v12, vcc, 0, v14, vcc
	v_mul_lo_u32 v8, v7, v8
	v_add_co_u32_e32 v8, vcc, v9, v8
	v_addc_co_u32_e32 v9, vcc, 0, v12, vcc
	v_add_co_u32_e32 v0, vcc, v0, v8
	v_addc_co_u32_e32 v7, vcc, v7, v9, vcc
	v_mul_lo_u32 v8, s4, v7
	v_mul_hi_u32 v9, s4, v0
	v_add_u32_e32 v8, v9, v8
	v_mul_lo_u32 v9, s5, v0
	v_add_u32_e32 v8, v8, v9
	v_mul_lo_u32 v12, s4, v0
	v_mul_hi_u32 v13, v7, v12
	v_mul_lo_u32 v14, v7, v12
	v_mul_lo_u32 v19, v0, v8
	v_mul_hi_u32 v12, v0, v12
	v_mul_hi_u32 v15, v0, v8
	v_add_co_u32_e32 v12, vcc, v12, v19
	v_addc_co_u32_e32 v15, vcc, 0, v15, vcc
	v_add_co_u32_e32 v12, vcc, v12, v14
	v_mul_hi_u32 v9, v7, v8
	v_addc_co_u32_e32 v12, vcc, v15, v13, vcc
	v_addc_co_u32_e32 v9, vcc, 0, v9, vcc
	v_mul_lo_u32 v8, v7, v8
	v_add_co_u32_e32 v8, vcc, v12, v8
	v_addc_co_u32_e32 v9, vcc, 0, v9, vcc
	v_add_co_u32_e32 v0, vcc, v0, v8
	v_addc_co_u32_e32 v7, vcc, v7, v9, vcc
	v_ashrrev_i32_e32 v12, 31, v11
	v_add_co_u32_e32 v8, vcc, v10, v12
	v_addc_co_u32_e32 v9, vcc, v11, v12, vcc
	v_xor_b32_e32 v14, v8, v12
	v_xor_b32_e32 v13, v9, v12
	v_mad_u64_u32 v[8:9], s[4:5], v14, v7, 0
	v_mul_hi_u32 v10, v14, v0
	v_add_co_u32_e32 v15, vcc, v10, v8
	v_addc_co_u32_e32 v19, vcc, 0, v9, vcc
	v_mad_u64_u32 v[10:11], s[4:5], v13, v0, 0
	v_add_co_u32_e32 v0, vcc, v15, v10
	v_mad_u64_u32 v[8:9], s[4:5], v13, v7, 0
	v_addc_co_u32_e32 v0, vcc, v19, v11, vcc
	v_addc_co_u32_e32 v7, vcc, 0, v9, vcc
	v_add_co_u32_e32 v0, vcc, v0, v8
	v_addc_co_u32_e32 v7, vcc, 0, v7, vcc
	v_mul_lo_u32 v10, s13, v0
	v_mul_lo_u32 v7, s12, v7
	v_mad_u64_u32 v[8:9], s[4:5], s12, v0, 0
	v_add3_u32 v7, v9, v7, v10
	v_sub_u32_e32 v9, v13, v7
	v_mov_b32_e32 v10, s13
	v_sub_co_u32_e32 v8, vcc, v14, v8
	v_subb_co_u32_e64 v9, s[4:5], v9, v10, vcc
	v_subrev_co_u32_e64 v10, s[4:5], s12, v8
	v_subbrev_co_u32_e64 v9, s[4:5], 0, v9, s[4:5]
	v_cmp_le_u32_e64 s[4:5], s13, v9
	v_subb_co_u32_e32 v7, vcc, v13, v7, vcc
	v_cndmask_b32_e64 v11, 0, -1, s[4:5]
	v_cmp_le_u32_e64 s[4:5], s12, v10
	v_cmp_le_u32_e32 vcc, s13, v7
	v_cndmask_b32_e64 v10, 0, -1, s[4:5]
	v_cmp_eq_u32_e64 s[4:5], s13, v9
	v_cndmask_b32_e64 v13, 0, -1, vcc
	v_cmp_le_u32_e32 vcc, s12, v8
	v_cndmask_b32_e64 v9, v11, v10, s[4:5]
	v_cndmask_b32_e64 v8, 0, -1, vcc
	v_cmp_eq_u32_e32 vcc, s13, v7
	v_add_co_u32_e64 v10, s[4:5], 2, v0
	v_add_co_u32_e64 v11, s[4:5], 1, v0
	v_cndmask_b32_e32 v7, v13, v8, vcc
	v_cmp_ne_u32_e32 vcc, 0, v9
	v_cndmask_b32_e32 v8, v11, v10, vcc
	v_cmp_ne_u32_e32 vcc, 0, v7
	v_cndmask_b32_e32 v0, v0, v8, vcc
	v_xor_b32_e32 v7, s10, v12
	v_xor_b32_e32 v0, v0, v7
	v_sub_co_u32_e32 v8, vcc, v0, v7
                                        ; implicit-def: $vgpr10_vgpr11
.LBB2_21:                               ;   in Loop: Header=BB2_15 Depth=1
	s_andn2_saveexec_b64 s[4:5], s[6:7]
	s_cbranch_execz .LBB2_23
; %bb.22:                               ;   in Loop: Header=BB2_15 Depth=1
	s_sub_i32 s6, 0, s33
	v_mul_lo_u32 v0, s6, v17
	v_mul_hi_u32 v0, v17, v0
	v_add_u32_e32 v0, v17, v0
	v_mul_hi_u32 v0, v10, v0
	v_mul_lo_u32 v7, v0, s33
	v_sub_u32_e32 v7, v10, v7
	v_subrev_u32_e32 v8, s33, v7
	v_cmp_le_u32_e32 vcc, s33, v7
	v_cndmask_b32_e32 v7, v7, v8, vcc
	v_add_u32_e32 v8, 1, v0
	v_cndmask_b32_e32 v0, v0, v8, vcc
	v_add_u32_e32 v8, 1, v0
	v_cmp_le_u32_e32 vcc, s33, v7
	v_cndmask_b32_e32 v8, v0, v8, vcc
.LBB2_23:                               ;   in Loop: Header=BB2_15 Depth=1
	s_or_b64 exec, exec, s[4:5]
	v_add_co_u32_e32 v0, vcc, 1, v4
	v_addc_co_u32_e32 v3, vcc, 0, v3, vcc
	v_mul_lo_u32 v7, v0, s40
	v_mul_lo_u32 v3, v3, s41
	v_mad_u64_u32 v[10:11], s[4:5], v0, s41, -1
	v_add3_u32 v11, v3, v11, v7
	v_or_b32_e32 v13, s19, v11
	v_mov_b32_e32 v12, v1
	v_cmp_ne_u64_e32 vcc, 0, v[12:13]
                                        ; implicit-def: $vgpr12_vgpr13
	s_and_saveexec_b64 s[4:5], vcc
	s_xor_b64 s[6:7], exec, s[4:5]
	s_cbranch_execnz .LBB2_26
; %bb.24:                               ;   in Loop: Header=BB2_15 Depth=1
	s_andn2_saveexec_b64 s[4:5], s[6:7]
	s_cbranch_execnz .LBB2_27
.LBB2_25:                               ;   in Loop: Header=BB2_15 Depth=1
	s_or_b64 exec, exec, s[4:5]
	s_and_saveexec_b64 s[10:11], s[0:1]
	s_cbranch_execz .LBB2_14
	s_branch .LBB2_28
.LBB2_26:                               ;   in Loop: Header=BB2_15 Depth=1
	s_add_u32 s4, s33, s19
	s_mov_b32 s10, s19
	s_mov_b32 s11, s19
	s_addc_u32 s5, s19, s19
	s_xor_b64 s[12:13], s[4:5], s[10:11]
	v_cvt_f32_u32_e32 v0, s12
	v_cvt_f32_u32_e32 v3, s13
	s_sub_u32 s4, 0, s12
	s_subb_u32 s5, 0, s13
	v_mac_f32_e32 v0, 0x4f800000, v3
	v_rcp_f32_e32 v0, v0
	v_mul_f32_e32 v0, 0x5f7ffffc, v0
	v_mul_f32_e32 v3, 0x2f800000, v0
	v_trunc_f32_e32 v3, v3
	v_mac_f32_e32 v0, 0xcf800000, v3
	v_cvt_u32_f32_e32 v3, v3
	v_cvt_u32_f32_e32 v0, v0
	v_mul_lo_u32 v7, s4, v3
	v_mul_hi_u32 v12, s4, v0
	v_mul_lo_u32 v9, s5, v0
	v_add_u32_e32 v7, v12, v7
	v_mul_lo_u32 v13, s4, v0
	v_add_u32_e32 v7, v7, v9
	v_mul_lo_u32 v12, v0, v7
	v_mul_hi_u32 v14, v0, v13
	v_mul_hi_u32 v9, v0, v7
	v_add_co_u32_e32 v12, vcc, v14, v12
	v_addc_co_u32_e32 v9, vcc, 0, v9, vcc
	v_mul_hi_u32 v15, v3, v13
	v_mul_lo_u32 v13, v3, v13
	v_add_co_u32_e32 v12, vcc, v12, v13
	v_mul_hi_u32 v14, v3, v7
	v_addc_co_u32_e32 v9, vcc, v9, v15, vcc
	v_addc_co_u32_e32 v12, vcc, 0, v14, vcc
	v_mul_lo_u32 v7, v3, v7
	v_add_co_u32_e32 v7, vcc, v9, v7
	v_addc_co_u32_e32 v9, vcc, 0, v12, vcc
	v_add_co_u32_e32 v0, vcc, v0, v7
	v_addc_co_u32_e32 v3, vcc, v3, v9, vcc
	v_mul_lo_u32 v7, s4, v3
	v_mul_hi_u32 v9, s4, v0
	v_add_u32_e32 v7, v9, v7
	v_mul_lo_u32 v9, s5, v0
	v_add_u32_e32 v7, v7, v9
	v_mul_lo_u32 v12, s4, v0
	v_mul_hi_u32 v13, v3, v12
	v_mul_lo_u32 v14, v3, v12
	v_mul_lo_u32 v19, v0, v7
	v_mul_hi_u32 v12, v0, v12
	v_mul_hi_u32 v15, v0, v7
	v_add_co_u32_e32 v12, vcc, v12, v19
	v_addc_co_u32_e32 v15, vcc, 0, v15, vcc
	v_add_co_u32_e32 v12, vcc, v12, v14
	v_mul_hi_u32 v9, v3, v7
	v_addc_co_u32_e32 v12, vcc, v15, v13, vcc
	v_addc_co_u32_e32 v9, vcc, 0, v9, vcc
	v_mul_lo_u32 v7, v3, v7
	v_add_co_u32_e32 v7, vcc, v12, v7
	v_addc_co_u32_e32 v9, vcc, 0, v9, vcc
	v_add_co_u32_e32 v0, vcc, v0, v7
	v_addc_co_u32_e32 v3, vcc, v3, v9, vcc
	v_ashrrev_i32_e32 v7, 31, v11
	v_add_co_u32_e32 v9, vcc, v10, v7
	v_addc_co_u32_e32 v10, vcc, v11, v7, vcc
	v_xor_b32_e32 v9, v9, v7
	v_xor_b32_e32 v14, v10, v7
	v_mad_u64_u32 v[10:11], s[4:5], v9, v3, 0
	v_mul_hi_u32 v12, v9, v0
	v_add_co_u32_e32 v15, vcc, v12, v10
	v_addc_co_u32_e32 v19, vcc, 0, v11, vcc
	v_mad_u64_u32 v[12:13], s[4:5], v14, v0, 0
	v_add_co_u32_e32 v0, vcc, v15, v12
	v_mad_u64_u32 v[10:11], s[4:5], v14, v3, 0
	v_addc_co_u32_e32 v0, vcc, v19, v13, vcc
	v_addc_co_u32_e32 v3, vcc, 0, v11, vcc
	v_add_co_u32_e32 v0, vcc, v0, v10
	v_addc_co_u32_e32 v3, vcc, 0, v3, vcc
	v_mul_lo_u32 v12, s13, v0
	v_mul_lo_u32 v3, s12, v3
	v_mad_u64_u32 v[10:11], s[4:5], s12, v0, 0
	v_add3_u32 v3, v11, v3, v12
	v_sub_u32_e32 v11, v14, v3
	v_mov_b32_e32 v12, s13
	v_sub_co_u32_e32 v9, vcc, v9, v10
	v_subb_co_u32_e64 v10, s[4:5], v11, v12, vcc
	v_subrev_co_u32_e64 v11, s[4:5], s12, v9
	v_subbrev_co_u32_e64 v10, s[4:5], 0, v10, s[4:5]
	v_cmp_le_u32_e64 s[4:5], s13, v10
	v_subb_co_u32_e32 v3, vcc, v14, v3, vcc
	v_cndmask_b32_e64 v12, 0, -1, s[4:5]
	v_cmp_le_u32_e64 s[4:5], s12, v11
	v_cmp_le_u32_e32 vcc, s13, v3
	v_cndmask_b32_e64 v11, 0, -1, s[4:5]
	v_cmp_eq_u32_e64 s[4:5], s13, v10
	v_cndmask_b32_e64 v13, 0, -1, vcc
	v_cmp_le_u32_e32 vcc, s12, v9
	v_cndmask_b32_e64 v10, v12, v11, s[4:5]
	v_cndmask_b32_e64 v9, 0, -1, vcc
	v_cmp_eq_u32_e32 vcc, s13, v3
	v_add_co_u32_e64 v11, s[4:5], 2, v0
	v_add_co_u32_e64 v12, s[4:5], 1, v0
	v_cndmask_b32_e32 v3, v13, v9, vcc
	v_cmp_ne_u32_e32 vcc, 0, v10
	v_cndmask_b32_e32 v9, v12, v11, vcc
	v_cmp_ne_u32_e32 vcc, 0, v3
	v_cndmask_b32_e32 v0, v0, v9, vcc
	v_xor_b32_e32 v3, s10, v7
	v_xor_b32_e32 v0, v0, v3
	v_sub_co_u32_e32 v12, vcc, v0, v3
                                        ; implicit-def: $vgpr10_vgpr11
	s_andn2_saveexec_b64 s[4:5], s[6:7]
	s_cbranch_execz .LBB2_25
.LBB2_27:                               ;   in Loop: Header=BB2_15 Depth=1
	s_sub_i32 s6, 0, s33
	v_mul_lo_u32 v0, s6, v17
	v_mul_hi_u32 v0, v17, v0
	v_add_u32_e32 v0, v17, v0
	v_mul_hi_u32 v0, v10, v0
	v_mul_lo_u32 v3, v0, s33
	v_sub_u32_e32 v3, v10, v3
	v_subrev_u32_e32 v7, s33, v3
	v_cmp_le_u32_e32 vcc, s33, v3
	v_cndmask_b32_e32 v3, v3, v7, vcc
	v_add_u32_e32 v7, 1, v0
	v_cndmask_b32_e32 v0, v0, v7, vcc
	v_add_u32_e32 v7, 1, v0
	v_cmp_le_u32_e32 vcc, s33, v3
	v_cndmask_b32_e32 v12, v0, v7, vcc
	s_or_b64 exec, exec, s[4:5]
	s_and_saveexec_b64 s[10:11], s[0:1]
	s_cbranch_execz .LBB2_14
.LBB2_28:                               ;   in Loop: Header=BB2_15 Depth=1
	v_mad_u64_u32 v[6:7], s[4:5], v6, s41, v[8:9]
	v_mul_lo_u32 v8, v4, s25
	v_ashrrev_i32_e32 v9, 31, v8
	v_sub_u32_e32 v0, v12, v6
	v_lshlrev_b64 v[8:9], 1, v[8:9]
	v_add_u32_e32 v3, 1, v0
	v_mov_b32_e32 v0, s37
	v_add_co_u32_e32 v7, vcc, s36, v8
	v_addc_co_u32_e32 v19, vcc, v0, v9, vcc
	v_cmp_lt_i32_e64 s[4:5], 0, v3
	v_mul_lo_u32 v20, v3, v5
	s_mov_b64 s[12:13], 0
	v_mov_b32_e32 v0, v16
	s_branch .LBB2_30
.LBB2_29:                               ;   in Loop: Header=BB2_30 Depth=2
	v_mul_lo_u32 v8, v20, v10
	v_cvt_f32_i32_e32 v8, v8
	v_lshlrev_b64 v[10:11], 1, v[0:1]
	v_add_co_u32_e32 v10, vcc, v7, v10
	v_div_scale_f32 v12, s[6:7], v8, v8, v9
	v_rcp_f32_e32 v13, v12
	v_addc_co_u32_e32 v11, vcc, v19, v11, vcc
	v_add_u32_e32 v0, s39, v0
	v_fma_f32 v14, -v12, v13, 1.0
	v_fmac_f32_e32 v13, v14, v13
	v_div_scale_f32 v14, vcc, v9, v8, v9
	v_mul_f32_e32 v15, v14, v13
	v_fma_f32 v21, -v12, v15, v14
	v_fmac_f32_e32 v15, v21, v13
	v_fma_f32 v12, -v12, v15, v14
	v_div_fmas_f32 v12, v12, v13, v15
	v_div_fixup_f32 v8, v12, v8, v9
	v_cvt_f16_f32_e32 v8, v8
	v_cmp_le_i32_e32 vcc, s25, v0
	s_or_b64 s[12:13], vcc, s[12:13]
	global_store_short v[10:11], v8, off
	s_andn2_b64 exec, exec, s[12:13]
	s_cbranch_execz .LBB2_14
.LBB2_30:                               ;   Parent Loop BB2_15 Depth=1
                                        ; =>  This Loop Header: Depth=2
                                        ;       Child Loop BB2_46 Depth 3
                                        ;         Child Loop BB2_49 Depth 4
                                        ;           Child Loop BB2_51 Depth 5
	v_or_b32_e64 v9, 0, s34
	v_mov_b32_e32 v8, v1
	v_cmp_ne_u64_e32 vcc, 0, v[8:9]
                                        ; implicit-def: $vgpr8_vgpr9
	s_and_saveexec_b64 s[6:7], vcc
	s_xor_b64 s[16:17], exec, s[6:7]
	s_cbranch_execz .LBB2_32
; %bb.31:                               ;   in Loop: Header=BB2_30 Depth=2
	s_add_u32 s6, s35, s34
	s_mov_b32 s26, s34
	s_mov_b32 s27, s34
	s_addc_u32 s7, s34, s34
	s_xor_b64 s[28:29], s[6:7], s[26:27]
	v_cvt_f32_u32_e32 v8, s28
	v_cvt_f32_u32_e32 v9, s29
	s_sub_u32 s6, 0, s28
	s_subb_u32 s7, 0, s29
	v_mac_f32_e32 v8, 0x4f800000, v9
	v_rcp_f32_e32 v8, v8
	v_mul_f32_e32 v8, 0x5f7ffffc, v8
	v_mul_f32_e32 v9, 0x2f800000, v8
	v_trunc_f32_e32 v9, v9
	v_mac_f32_e32 v8, 0xcf800000, v9
	v_cvt_u32_f32_e32 v9, v9
	v_cvt_u32_f32_e32 v8, v8
	v_mul_lo_u32 v10, s6, v9
	v_mul_hi_u32 v12, s6, v8
	v_mul_lo_u32 v11, s7, v8
	v_add_u32_e32 v10, v12, v10
	v_mul_lo_u32 v13, s6, v8
	v_add_u32_e32 v10, v10, v11
	v_mul_lo_u32 v12, v8, v10
	v_mul_hi_u32 v14, v8, v13
	v_mul_hi_u32 v11, v8, v10
	v_add_co_u32_e32 v12, vcc, v14, v12
	v_addc_co_u32_e32 v11, vcc, 0, v11, vcc
	v_mul_hi_u32 v15, v9, v13
	v_mul_lo_u32 v13, v9, v13
	v_add_co_u32_e32 v12, vcc, v12, v13
	v_mul_hi_u32 v14, v9, v10
	v_addc_co_u32_e32 v11, vcc, v11, v15, vcc
	v_addc_co_u32_e32 v12, vcc, 0, v14, vcc
	v_mul_lo_u32 v10, v9, v10
	v_add_co_u32_e32 v10, vcc, v11, v10
	v_addc_co_u32_e32 v11, vcc, 0, v12, vcc
	v_add_co_u32_e32 v8, vcc, v8, v10
	v_addc_co_u32_e32 v9, vcc, v9, v11, vcc
	v_mul_lo_u32 v10, s6, v9
	v_mul_hi_u32 v11, s6, v8
	v_add_u32_e32 v10, v11, v10
	v_mul_lo_u32 v11, s7, v8
	v_add_u32_e32 v10, v10, v11
	v_mul_lo_u32 v12, s6, v8
	v_mul_hi_u32 v13, v9, v12
	v_mul_lo_u32 v14, v9, v12
	v_mul_lo_u32 v21, v8, v10
	v_mul_hi_u32 v12, v8, v12
	v_mul_hi_u32 v15, v8, v10
	v_add_co_u32_e32 v12, vcc, v12, v21
	v_addc_co_u32_e32 v15, vcc, 0, v15, vcc
	v_add_co_u32_e32 v12, vcc, v12, v14
	v_mul_hi_u32 v11, v9, v10
	v_addc_co_u32_e32 v12, vcc, v15, v13, vcc
	v_addc_co_u32_e32 v11, vcc, 0, v11, vcc
	v_mul_lo_u32 v10, v9, v10
	v_add_co_u32_e32 v10, vcc, v12, v10
	v_addc_co_u32_e32 v11, vcc, 0, v11, vcc
	v_add_co_u32_e32 v10, vcc, v8, v10
	v_addc_co_u32_e32 v11, vcc, v9, v11, vcc
	v_ashrrev_i32_e64 v12, 31, 0
	v_add_co_u32_e32 v8, vcc, v0, v12
	v_addc_co_u32_e32 v9, vcc, 0, v12, vcc
	v_xor_b32_e32 v14, v8, v12
	v_xor_b32_e32 v13, v9, v12
	v_mad_u64_u32 v[8:9], s[6:7], v14, v11, 0
	v_mul_hi_u32 v15, v14, v10
	v_add_co_u32_e32 v15, vcc, v15, v8
	v_addc_co_u32_e32 v21, vcc, 0, v9, vcc
	v_mad_u64_u32 v[8:9], s[6:7], v13, v11, 0
	v_mad_u64_u32 v[10:11], s[6:7], v13, v10, 0
	v_add_co_u32_e32 v10, vcc, v15, v10
	v_addc_co_u32_e32 v10, vcc, v21, v11, vcc
	v_addc_co_u32_e32 v9, vcc, 0, v9, vcc
	v_add_co_u32_e32 v10, vcc, v10, v8
	v_addc_co_u32_e32 v11, vcc, 0, v9, vcc
	v_mul_lo_u32 v15, s29, v10
	v_mul_lo_u32 v21, s28, v11
	v_mad_u64_u32 v[8:9], s[6:7], s28, v10, 0
	v_add3_u32 v9, v9, v21, v15
	v_sub_u32_e32 v15, v13, v9
	v_mov_b32_e32 v21, s29
	v_sub_co_u32_e32 v8, vcc, v14, v8
	v_subb_co_u32_e64 v14, s[6:7], v15, v21, vcc
	v_subrev_co_u32_e64 v15, s[6:7], s28, v8
	v_subbrev_co_u32_e64 v14, s[6:7], 0, v14, s[6:7]
	v_cmp_le_u32_e64 s[6:7], s29, v14
	v_cndmask_b32_e64 v21, 0, -1, s[6:7]
	v_cmp_le_u32_e64 s[6:7], s28, v15
	v_cndmask_b32_e64 v15, 0, -1, s[6:7]
	v_cmp_eq_u32_e64 s[6:7], s29, v14
	v_cndmask_b32_e64 v14, v21, v15, s[6:7]
	v_add_co_u32_e64 v15, s[6:7], 2, v10
	v_subb_co_u32_e32 v9, vcc, v13, v9, vcc
	v_addc_co_u32_e64 v21, s[6:7], 0, v11, s[6:7]
	v_cmp_le_u32_e32 vcc, s29, v9
	v_add_co_u32_e64 v22, s[6:7], 1, v10
	v_cndmask_b32_e64 v13, 0, -1, vcc
	v_cmp_le_u32_e32 vcc, s28, v8
	v_addc_co_u32_e64 v23, s[6:7], 0, v11, s[6:7]
	v_cndmask_b32_e64 v8, 0, -1, vcc
	v_cmp_eq_u32_e32 vcc, s29, v9
	v_cmp_ne_u32_e64 s[6:7], 0, v14
	v_cndmask_b32_e32 v8, v13, v8, vcc
	v_cndmask_b32_e64 v14, v23, v21, s[6:7]
	v_cmp_ne_u32_e32 vcc, 0, v8
	v_cndmask_b32_e64 v9, v22, v15, s[6:7]
	v_cndmask_b32_e32 v8, v11, v14, vcc
	v_cndmask_b32_e32 v9, v10, v9, vcc
	v_xor_b32_e32 v10, s27, v12
	v_xor_b32_e32 v11, s26, v12
	;; [unrolled: 1-line block ×4, first 2 shown]
	v_sub_co_u32_e32 v8, vcc, v8, v11
	v_subb_co_u32_e32 v9, vcc, v12, v10, vcc
.LBB2_32:                               ;   in Loop: Header=BB2_30 Depth=2
	s_or_saveexec_b64 s[6:7], s[16:17]
	v_cvt_f32_u32_e32 v21, s35
	s_xor_b64 exec, exec, s[6:7]
	s_cbranch_execz .LBB2_34
; %bb.33:                               ;   in Loop: Header=BB2_30 Depth=2
	v_rcp_iflag_f32_e32 v8, v21
	s_sub_i32 s16, 0, s35
	v_mul_f32_e32 v8, 0x4f7ffffe, v8
	v_cvt_u32_f32_e32 v8, v8
	v_mul_lo_u32 v9, s16, v8
	v_mul_hi_u32 v9, v8, v9
	v_add_u32_e32 v8, v8, v9
	v_mul_hi_u32 v8, v0, v8
	v_mul_lo_u32 v9, v8, s35
	v_sub_u32_e32 v9, v0, v9
	v_add_u32_e32 v10, 1, v8
	v_subrev_u32_e32 v11, s35, v9
	v_cmp_le_u32_e32 vcc, s35, v9
	v_cndmask_b32_e32 v9, v9, v11, vcc
	v_cndmask_b32_e32 v8, v8, v10, vcc
	v_add_u32_e32 v10, 1, v8
	v_cmp_le_u32_e32 vcc, s35, v9
	v_cndmask_b32_e32 v8, v8, v10, vcc
	v_mov_b32_e32 v9, v1
.LBB2_34:                               ;   in Loop: Header=BB2_30 Depth=2
	s_or_b64 exec, exec, s[6:7]
	v_mul_lo_u32 v9, v9, s35
	v_mul_lo_u32 v12, v8, s34
	v_mad_u64_u32 v[10:11], s[6:7], v8, s35, 0
	v_add3_u32 v9, v11, v12, v9
	v_sub_co_u32_e32 v10, vcc, v0, v10
	v_subb_co_u32_e32 v9, vcc, 0, v9, vcc
	v_mul_lo_u32 v9, v9, s18
	v_mul_lo_u32 v11, v10, s42
	v_mad_u64_u32 v[12:13], s[6:7], v10, s18, 0
	v_add3_u32 v13, v13, v11, v9
	v_or_b32_e32 v11, s34, v13
	v_mov_b32_e32 v10, v1
	v_cmp_ne_u64_e32 vcc, 0, v[10:11]
                                        ; implicit-def: $vgpr10_vgpr11
	s_and_saveexec_b64 s[6:7], vcc
	s_xor_b64 s[16:17], exec, s[6:7]
	s_cbranch_execz .LBB2_36
; %bb.35:                               ;   in Loop: Header=BB2_30 Depth=2
	s_add_u32 s6, s35, s34
	s_mov_b32 s26, s34
	s_mov_b32 s27, s34
	s_addc_u32 s7, s34, s34
	s_xor_b64 s[28:29], s[6:7], s[26:27]
	v_cvt_f32_u32_e32 v9, s28
	v_cvt_f32_u32_e32 v10, s29
	s_sub_u32 s6, 0, s28
	s_subb_u32 s7, 0, s29
	v_mac_f32_e32 v9, 0x4f800000, v10
	v_rcp_f32_e32 v9, v9
	v_mul_f32_e32 v9, 0x5f7ffffc, v9
	v_mul_f32_e32 v10, 0x2f800000, v9
	v_trunc_f32_e32 v10, v10
	v_mac_f32_e32 v9, 0xcf800000, v10
	v_cvt_u32_f32_e32 v10, v10
	v_cvt_u32_f32_e32 v9, v9
	v_mul_lo_u32 v11, s6, v10
	v_mul_hi_u32 v15, s6, v9
	v_mul_lo_u32 v14, s7, v9
	v_add_u32_e32 v11, v15, v11
	v_mul_lo_u32 v22, s6, v9
	v_add_u32_e32 v11, v11, v14
	v_mul_lo_u32 v15, v9, v11
	v_mul_hi_u32 v23, v9, v22
	v_mul_hi_u32 v14, v9, v11
	v_add_co_u32_e32 v15, vcc, v23, v15
	v_addc_co_u32_e32 v14, vcc, 0, v14, vcc
	v_mul_hi_u32 v24, v10, v22
	v_mul_lo_u32 v22, v10, v22
	v_add_co_u32_e32 v15, vcc, v15, v22
	v_mul_hi_u32 v23, v10, v11
	v_addc_co_u32_e32 v14, vcc, v14, v24, vcc
	v_addc_co_u32_e32 v15, vcc, 0, v23, vcc
	v_mul_lo_u32 v11, v10, v11
	v_add_co_u32_e32 v11, vcc, v14, v11
	v_addc_co_u32_e32 v14, vcc, 0, v15, vcc
	v_add_co_u32_e32 v9, vcc, v9, v11
	v_addc_co_u32_e32 v10, vcc, v10, v14, vcc
	v_mul_lo_u32 v11, s6, v10
	v_mul_hi_u32 v14, s6, v9
	v_add_u32_e32 v11, v14, v11
	v_mul_lo_u32 v14, s7, v9
	v_add_u32_e32 v11, v11, v14
	v_mul_lo_u32 v15, s6, v9
	v_mul_hi_u32 v22, v10, v15
	v_mul_lo_u32 v23, v10, v15
	v_mul_lo_u32 v25, v9, v11
	v_mul_hi_u32 v15, v9, v15
	v_mul_hi_u32 v24, v9, v11
	v_add_co_u32_e32 v15, vcc, v15, v25
	v_addc_co_u32_e32 v24, vcc, 0, v24, vcc
	v_add_co_u32_e32 v15, vcc, v15, v23
	v_mul_hi_u32 v14, v10, v11
	v_addc_co_u32_e32 v15, vcc, v24, v22, vcc
	v_addc_co_u32_e32 v14, vcc, 0, v14, vcc
	v_mul_lo_u32 v11, v10, v11
	v_add_co_u32_e32 v11, vcc, v15, v11
	v_addc_co_u32_e32 v14, vcc, 0, v14, vcc
	v_add_co_u32_e32 v9, vcc, v9, v11
	v_addc_co_u32_e32 v14, vcc, v10, v14, vcc
	v_ashrrev_i32_e32 v15, 31, v13
	v_add_co_u32_e32 v10, vcc, v12, v15
	v_addc_co_u32_e32 v11, vcc, v13, v15, vcc
	v_xor_b32_e32 v23, v10, v15
	v_xor_b32_e32 v22, v11, v15
	v_mad_u64_u32 v[10:11], s[6:7], v23, v14, 0
	v_mul_hi_u32 v12, v23, v9
	v_add_co_u32_e32 v24, vcc, v12, v10
	v_addc_co_u32_e32 v25, vcc, 0, v11, vcc
	v_mad_u64_u32 v[12:13], s[6:7], v22, v9, 0
	v_add_co_u32_e32 v9, vcc, v24, v12
	v_mad_u64_u32 v[10:11], s[6:7], v22, v14, 0
	v_addc_co_u32_e32 v9, vcc, v25, v13, vcc
	v_addc_co_u32_e32 v11, vcc, 0, v11, vcc
	v_add_co_u32_e32 v9, vcc, v9, v10
	v_addc_co_u32_e32 v10, vcc, 0, v11, vcc
	v_mul_lo_u32 v12, s29, v9
	v_mul_lo_u32 v13, s28, v10
	v_mad_u64_u32 v[10:11], s[6:7], s28, v9, 0
	v_add3_u32 v11, v11, v13, v12
	v_sub_u32_e32 v12, v22, v11
	v_mov_b32_e32 v13, s29
	v_sub_co_u32_e32 v10, vcc, v23, v10
	v_subb_co_u32_e64 v12, s[6:7], v12, v13, vcc
	v_subrev_co_u32_e64 v13, s[6:7], s28, v10
	v_subbrev_co_u32_e64 v12, s[6:7], 0, v12, s[6:7]
	v_cmp_le_u32_e64 s[6:7], s29, v12
	v_subb_co_u32_e32 v11, vcc, v22, v11, vcc
	v_cndmask_b32_e64 v14, 0, -1, s[6:7]
	v_cmp_le_u32_e64 s[6:7], s28, v13
	v_cmp_le_u32_e32 vcc, s29, v11
	v_cndmask_b32_e64 v13, 0, -1, s[6:7]
	v_cmp_eq_u32_e64 s[6:7], s29, v12
	v_cndmask_b32_e64 v22, 0, -1, vcc
	v_cmp_le_u32_e32 vcc, s28, v10
	v_cndmask_b32_e64 v12, v14, v13, s[6:7]
	v_cndmask_b32_e64 v10, 0, -1, vcc
	v_cmp_eq_u32_e32 vcc, s29, v11
	v_add_co_u32_e64 v13, s[6:7], 2, v9
	v_add_co_u32_e64 v14, s[6:7], 1, v9
	v_cndmask_b32_e32 v10, v22, v10, vcc
	v_cmp_ne_u32_e32 vcc, 0, v12
	v_cndmask_b32_e32 v11, v14, v13, vcc
	v_cmp_ne_u32_e32 vcc, 0, v10
	v_cndmask_b32_e32 v9, v9, v11, vcc
	v_xor_b32_e32 v10, s26, v15
	v_xor_b32_e32 v9, v9, v10
	v_sub_co_u32_e32 v10, vcc, v9, v10
                                        ; implicit-def: $vgpr12_vgpr13
.LBB2_36:                               ;   in Loop: Header=BB2_30 Depth=2
	s_andn2_saveexec_b64 s[6:7], s[16:17]
	s_cbranch_execz .LBB2_38
; %bb.37:                               ;   in Loop: Header=BB2_30 Depth=2
	v_rcp_iflag_f32_e32 v9, v21
	s_sub_i32 s16, 0, s35
	v_mul_f32_e32 v9, 0x4f7ffffe, v9
	v_cvt_u32_f32_e32 v9, v9
	v_mul_lo_u32 v10, s16, v9
	v_mul_hi_u32 v10, v9, v10
	v_add_u32_e32 v9, v9, v10
	v_mul_hi_u32 v9, v12, v9
	v_mul_lo_u32 v10, v9, s35
	v_sub_u32_e32 v10, v12, v10
	v_add_u32_e32 v11, 1, v9
	v_subrev_u32_e32 v12, s35, v10
	v_cmp_le_u32_e32 vcc, s35, v10
	v_cndmask_b32_e32 v10, v10, v12, vcc
	v_cndmask_b32_e32 v9, v9, v11, vcc
	v_add_u32_e32 v11, 1, v9
	v_cmp_le_u32_e32 vcc, s35, v10
	v_cndmask_b32_e32 v10, v9, v11, vcc
.LBB2_38:                               ;   in Loop: Header=BB2_30 Depth=2
	s_or_b64 exec, exec, s[6:7]
	v_add_co_u32_e32 v9, vcc, 1, v0
	v_addc_co_u32_e64 v11, s[6:7], 0, 0, vcc
	v_mul_lo_u32 v14, v9, s42
	v_mul_lo_u32 v11, v11, s18
	v_mad_u64_u32 v[12:13], s[6:7], v9, s18, -1
	v_add3_u32 v13, v11, v13, v14
	v_or_b32_e32 v15, s34, v13
	v_mov_b32_e32 v14, v1
	v_cmp_ne_u64_e32 vcc, 0, v[14:15]
                                        ; implicit-def: $vgpr14_vgpr15
	s_and_saveexec_b64 s[6:7], vcc
	s_xor_b64 s[16:17], exec, s[6:7]
	s_cbranch_execz .LBB2_40
; %bb.39:                               ;   in Loop: Header=BB2_30 Depth=2
	s_add_u32 s6, s35, s34
	s_mov_b32 s26, s34
	s_mov_b32 s27, s34
	s_addc_u32 s7, s34, s34
	s_xor_b64 s[28:29], s[6:7], s[26:27]
	v_cvt_f32_u32_e32 v9, s28
	v_cvt_f32_u32_e32 v11, s29
	s_sub_u32 s6, 0, s28
	s_subb_u32 s7, 0, s29
	v_mac_f32_e32 v9, 0x4f800000, v11
	v_rcp_f32_e32 v9, v9
	v_mul_f32_e32 v9, 0x5f7ffffc, v9
	v_mul_f32_e32 v11, 0x2f800000, v9
	v_trunc_f32_e32 v11, v11
	v_mac_f32_e32 v9, 0xcf800000, v11
	v_cvt_u32_f32_e32 v11, v11
	v_cvt_u32_f32_e32 v9, v9
	v_mul_lo_u32 v14, s6, v11
	v_mul_hi_u32 v21, s6, v9
	v_mul_lo_u32 v15, s7, v9
	v_add_u32_e32 v14, v21, v14
	v_mul_lo_u32 v22, s6, v9
	v_add_u32_e32 v14, v14, v15
	v_mul_lo_u32 v21, v9, v14
	v_mul_hi_u32 v23, v9, v22
	v_mul_hi_u32 v15, v9, v14
	v_add_co_u32_e32 v21, vcc, v23, v21
	v_addc_co_u32_e32 v15, vcc, 0, v15, vcc
	v_mul_hi_u32 v24, v11, v22
	v_mul_lo_u32 v22, v11, v22
	v_add_co_u32_e32 v21, vcc, v21, v22
	v_mul_hi_u32 v23, v11, v14
	v_addc_co_u32_e32 v15, vcc, v15, v24, vcc
	v_addc_co_u32_e32 v21, vcc, 0, v23, vcc
	v_mul_lo_u32 v14, v11, v14
	v_add_co_u32_e32 v14, vcc, v15, v14
	v_addc_co_u32_e32 v15, vcc, 0, v21, vcc
	v_add_co_u32_e32 v9, vcc, v9, v14
	v_addc_co_u32_e32 v11, vcc, v11, v15, vcc
	v_mul_lo_u32 v14, s6, v11
	v_mul_hi_u32 v15, s6, v9
	v_add_u32_e32 v14, v15, v14
	v_mul_lo_u32 v15, s7, v9
	v_add_u32_e32 v14, v14, v15
	v_mul_lo_u32 v21, s6, v9
	v_mul_hi_u32 v22, v11, v21
	v_mul_lo_u32 v23, v11, v21
	v_mul_lo_u32 v25, v9, v14
	v_mul_hi_u32 v21, v9, v21
	v_mul_hi_u32 v24, v9, v14
	v_add_co_u32_e32 v21, vcc, v21, v25
	v_addc_co_u32_e32 v24, vcc, 0, v24, vcc
	v_add_co_u32_e32 v21, vcc, v21, v23
	v_mul_hi_u32 v15, v11, v14
	v_addc_co_u32_e32 v21, vcc, v24, v22, vcc
	v_addc_co_u32_e32 v15, vcc, 0, v15, vcc
	v_mul_lo_u32 v14, v11, v14
	v_add_co_u32_e32 v14, vcc, v21, v14
	v_addc_co_u32_e32 v15, vcc, 0, v15, vcc
	v_add_co_u32_e32 v9, vcc, v9, v14
	v_addc_co_u32_e32 v11, vcc, v11, v15, vcc
	v_ashrrev_i32_e32 v21, 31, v13
	v_add_co_u32_e32 v12, vcc, v12, v21
	v_addc_co_u32_e32 v13, vcc, v13, v21, vcc
	v_xor_b32_e32 v23, v12, v21
	v_xor_b32_e32 v22, v13, v21
	v_mad_u64_u32 v[12:13], s[6:7], v23, v11, 0
	v_mul_hi_u32 v14, v23, v9
	v_add_co_u32_e32 v24, vcc, v14, v12
	v_addc_co_u32_e32 v25, vcc, 0, v13, vcc
	v_mad_u64_u32 v[14:15], s[6:7], v22, v9, 0
	v_add_co_u32_e32 v9, vcc, v24, v14
	v_mad_u64_u32 v[12:13], s[6:7], v22, v11, 0
	v_addc_co_u32_e32 v9, vcc, v25, v15, vcc
	v_addc_co_u32_e32 v11, vcc, 0, v13, vcc
	v_add_co_u32_e32 v9, vcc, v9, v12
	v_addc_co_u32_e32 v11, vcc, 0, v11, vcc
	v_mul_lo_u32 v14, s29, v9
	v_mul_lo_u32 v11, s28, v11
	v_mad_u64_u32 v[12:13], s[6:7], s28, v9, 0
	v_add3_u32 v11, v13, v11, v14
	v_sub_u32_e32 v13, v22, v11
	v_mov_b32_e32 v14, s29
	v_sub_co_u32_e32 v12, vcc, v23, v12
	v_subb_co_u32_e64 v13, s[6:7], v13, v14, vcc
	v_subrev_co_u32_e64 v14, s[6:7], s28, v12
	v_subbrev_co_u32_e64 v13, s[6:7], 0, v13, s[6:7]
	v_cmp_le_u32_e64 s[6:7], s29, v13
	v_subb_co_u32_e32 v11, vcc, v22, v11, vcc
	v_cndmask_b32_e64 v15, 0, -1, s[6:7]
	v_cmp_le_u32_e64 s[6:7], s28, v14
	v_cmp_le_u32_e32 vcc, s29, v11
	v_cndmask_b32_e64 v14, 0, -1, s[6:7]
	v_cmp_eq_u32_e64 s[6:7], s29, v13
	v_cndmask_b32_e64 v22, 0, -1, vcc
	v_cmp_le_u32_e32 vcc, s28, v12
	v_cndmask_b32_e64 v13, v15, v14, s[6:7]
	v_cndmask_b32_e64 v12, 0, -1, vcc
	v_cmp_eq_u32_e32 vcc, s29, v11
	v_add_co_u32_e64 v14, s[6:7], 2, v9
	v_add_co_u32_e64 v15, s[6:7], 1, v9
	v_cndmask_b32_e32 v11, v22, v12, vcc
	v_cmp_ne_u32_e32 vcc, 0, v13
	v_cndmask_b32_e32 v12, v15, v14, vcc
	v_cmp_ne_u32_e32 vcc, 0, v11
	v_cndmask_b32_e32 v9, v9, v12, vcc
	v_xor_b32_e32 v11, s26, v21
	v_xor_b32_e32 v9, v9, v11
	v_sub_co_u32_e32 v14, vcc, v9, v11
                                        ; implicit-def: $vgpr21
                                        ; implicit-def: $vgpr12_vgpr13
.LBB2_40:                               ;   in Loop: Header=BB2_30 Depth=2
	s_andn2_saveexec_b64 s[6:7], s[16:17]
	s_cbranch_execz .LBB2_42
; %bb.41:                               ;   in Loop: Header=BB2_30 Depth=2
	v_rcp_iflag_f32_e32 v9, v21
	s_sub_i32 s16, 0, s35
	v_mul_f32_e32 v9, 0x4f7ffffe, v9
	v_cvt_u32_f32_e32 v9, v9
	v_mul_lo_u32 v11, s16, v9
	v_mul_hi_u32 v11, v9, v11
	v_add_u32_e32 v9, v9, v11
	v_mul_hi_u32 v9, v12, v9
	v_mul_lo_u32 v11, v9, s35
	v_sub_u32_e32 v11, v12, v11
	v_add_u32_e32 v13, 1, v9
	v_subrev_u32_e32 v12, s35, v11
	v_cmp_le_u32_e32 vcc, s35, v11
	v_cndmask_b32_e32 v11, v11, v12, vcc
	v_cndmask_b32_e32 v9, v9, v13, vcc
	v_add_u32_e32 v12, 1, v9
	v_cmp_le_u32_e32 vcc, s35, v11
	v_cndmask_b32_e32 v14, v9, v12, vcc
.LBB2_42:                               ;   in Loop: Header=BB2_30 Depth=2
	s_or_b64 exec, exec, s[6:7]
	v_mad_u64_u32 v[8:9], s[6:7], v8, s18, v[10:11]
	v_sub_u32_e32 v9, v14, v8
	v_add_u32_e32 v10, 1, v9
	s_andn2_b64 vcc, exec, s[2:3]
	v_mov_b32_e32 v9, 0
	s_cbranch_vccnz .LBB2_29
; %bb.43:                               ;   in Loop: Header=BB2_30 Depth=2
	s_mov_b32 s45, 0
	v_cmp_lt_i32_e64 s[6:7], 0, v10
	v_mov_b32_e32 v9, 0
	s_branch .LBB2_46
.LBB2_44:                               ;   in Loop: Header=BB2_46 Depth=3
	s_or_b64 exec, exec, s[26:27]
.LBB2_45:                               ;   in Loop: Header=BB2_46 Depth=3
	s_or_b64 exec, exec, s[16:17]
	s_add_i32 s45, s45, 1
	v_cmp_ne_u32_e32 vcc, s45, v18
	s_cbranch_vccz .LBB2_29
.LBB2_46:                               ;   Parent Loop BB2_15 Depth=1
                                        ;     Parent Loop BB2_30 Depth=2
                                        ; =>    This Loop Header: Depth=3
                                        ;         Child Loop BB2_49 Depth 4
                                        ;           Child Loop BB2_51 Depth 5
	s_and_saveexec_b64 s[16:17], s[4:5]
	s_cbranch_execz .LBB2_45
; %bb.47:                               ;   in Loop: Header=BB2_46 Depth=3
	v_add_u32_e32 v11, s45, v2
	v_ashrrev_i32_e32 v12, 31, v11
	v_mul_lo_u32 v13, v11, s15
	v_mul_hi_u32 v14, v11, s14
	v_add_u32_e32 v13, v14, v13
	v_mul_lo_u32 v12, v12, s14
	v_add_u32_e32 v13, v13, v12
	v_mul_lo_u32 v12, v11, s14
	v_lshlrev_b64 v[12:13], 1, v[12:13]
	v_mov_b32_e32 v14, s44
	v_add_co_u32_e32 v11, vcc, s43, v12
	v_addc_co_u32_e32 v12, vcc, v14, v13, vcc
	s_mov_b32 s46, 0
	s_mov_b64 s[26:27], 0
	s_branch .LBB2_49
.LBB2_48:                               ;   in Loop: Header=BB2_49 Depth=4
	s_or_b64 exec, exec, s[28:29]
	s_add_i32 s46, s46, 1
	v_cmp_ge_i32_e32 vcc, s46, v3
	s_or_b64 s[26:27], vcc, s[26:27]
	s_andn2_b64 exec, exec, s[26:27]
	s_cbranch_execz .LBB2_44
.LBB2_49:                               ;   Parent Loop BB2_15 Depth=1
                                        ;     Parent Loop BB2_30 Depth=2
                                        ;       Parent Loop BB2_46 Depth=3
                                        ; =>      This Loop Header: Depth=4
                                        ;           Child Loop BB2_51 Depth 5
	s_and_saveexec_b64 s[28:29], s[6:7]
	s_cbranch_execz .LBB2_48
; %bb.50:                               ;   in Loop: Header=BB2_49 Depth=4
	v_add_u32_e32 v13, s46, v6
	v_ashrrev_i32_e32 v14, 31, v13
	v_mul_lo_u32 v21, v14, s20
	v_mul_lo_u32 v22, v13, s21
	v_mad_u64_u32 v[14:15], s[30:31], v13, s20, 0
	v_add3_u32 v15, v15, v22, v21
	v_lshlrev_b64 v[14:15], 1, v[14:15]
	v_add_co_u32_e32 v13, vcc, v11, v14
	v_addc_co_u32_e32 v14, vcc, v12, v15, vcc
	s_mov_b32 s47, 0
	s_mov_b64 s[30:31], 0
.LBB2_51:                               ;   Parent Loop BB2_15 Depth=1
                                        ;     Parent Loop BB2_30 Depth=2
                                        ;       Parent Loop BB2_46 Depth=3
                                        ;         Parent Loop BB2_49 Depth=4
                                        ; =>        This Inner Loop Header: Depth=5
	v_add_u32_e32 v15, s47, v8
	v_ashrrev_i32_e32 v21, 31, v15
	v_mul_lo_u32 v24, v15, s23
	v_mad_u64_u32 v[22:23], s[48:49], v15, s22, 0
	v_mul_lo_u32 v15, v21, s22
	v_add3_u32 v23, v23, v24, v15
	v_lshlrev_b64 v[22:23], 1, v[22:23]
	v_add_co_u32_e32 v22, vcc, v13, v22
	v_addc_co_u32_e32 v23, vcc, v14, v23, vcc
	global_load_ushort v15, v[22:23], off
	s_add_i32 s47, s47, 1
	v_cmp_ge_i32_e32 vcc, s47, v10
	s_or_b64 s[30:31], vcc, s[30:31]
	s_waitcnt vmcnt(0)
	v_cvt_f32_f16_e32 v15, v15
	v_add_f32_e32 v9, v9, v15
	s_andn2_b64 exec, exec, s[30:31]
	s_cbranch_execnz .LBB2_51
; %bb.52:                               ;   in Loop: Header=BB2_49 Depth=4
	s_or_b64 exec, exec, s[30:31]
	s_branch .LBB2_48
.LBB2_53:
	s_endpgm
.LBB2_54:
                                        ; implicit-def: $sgpr26_sgpr27
	v_cvt_f32_u32_e32 v1, s8
	s_branch .LBB2_2
.LBB2_55:
                                        ; implicit-def: $vgpr2_vgpr3
	s_branch .LBB2_5
.LBB2_56:
                                        ; implicit-def: $vgpr6_vgpr7
	s_load_dword s16, s[4:5], 0x6c
	s_andn2_b64 vcc, exec, s[12:13]
	s_cbranch_vccz .LBB2_8
	s_branch .LBB2_9
.LBB2_57:
                                        ; implicit-def: $sgpr30_sgpr31
	s_load_dword s0, s[4:5], 0x64
	s_branch .LBB2_12
	.section	.rodata,"a",@progbits
	.p2align	6, 0x0
	.amdhsa_kernel _ZN2at6native12_GLOBAL__N_119adaptiveaveragepoolIN3c104HalfEfEEvPKT_PS5_iiiiiilllllll
		.amdhsa_group_segment_fixed_size 0
		.amdhsa_private_segment_fixed_size 0
		.amdhsa_kernarg_size 352
		.amdhsa_user_sgpr_count 6
		.amdhsa_user_sgpr_private_segment_buffer 1
		.amdhsa_user_sgpr_dispatch_ptr 0
		.amdhsa_user_sgpr_queue_ptr 0
		.amdhsa_user_sgpr_kernarg_segment_ptr 1
		.amdhsa_user_sgpr_dispatch_id 0
		.amdhsa_user_sgpr_flat_scratch_init 0
		.amdhsa_user_sgpr_kernarg_preload_length 0
		.amdhsa_user_sgpr_kernarg_preload_offset 0
		.amdhsa_user_sgpr_private_segment_size 0
		.amdhsa_uses_dynamic_stack 0
		.amdhsa_system_sgpr_private_segment_wavefront_offset 0
		.amdhsa_system_sgpr_workgroup_id_x 1
		.amdhsa_system_sgpr_workgroup_id_y 1
		.amdhsa_system_sgpr_workgroup_id_z 0
		.amdhsa_system_sgpr_workgroup_info 0
		.amdhsa_system_vgpr_workitem_id 1
		.amdhsa_next_free_vgpr 26
		.amdhsa_next_free_sgpr 50
		.amdhsa_accum_offset 28
		.amdhsa_reserve_vcc 1
		.amdhsa_reserve_flat_scratch 0
		.amdhsa_float_round_mode_32 0
		.amdhsa_float_round_mode_16_64 0
		.amdhsa_float_denorm_mode_32 3
		.amdhsa_float_denorm_mode_16_64 3
		.amdhsa_dx10_clamp 1
		.amdhsa_ieee_mode 1
		.amdhsa_fp16_overflow 0
		.amdhsa_tg_split 0
		.amdhsa_exception_fp_ieee_invalid_op 0
		.amdhsa_exception_fp_denorm_src 0
		.amdhsa_exception_fp_ieee_div_zero 0
		.amdhsa_exception_fp_ieee_overflow 0
		.amdhsa_exception_fp_ieee_underflow 0
		.amdhsa_exception_fp_ieee_inexact 0
		.amdhsa_exception_int_div_zero 0
	.end_amdhsa_kernel
	.section	.text._ZN2at6native12_GLOBAL__N_119adaptiveaveragepoolIN3c104HalfEfEEvPKT_PS5_iiiiiilllllll,"axG",@progbits,_ZN2at6native12_GLOBAL__N_119adaptiveaveragepoolIN3c104HalfEfEEvPKT_PS5_iiiiiilllllll,comdat
.Lfunc_end2:
	.size	_ZN2at6native12_GLOBAL__N_119adaptiveaveragepoolIN3c104HalfEfEEvPKT_PS5_iiiiiilllllll, .Lfunc_end2-_ZN2at6native12_GLOBAL__N_119adaptiveaveragepoolIN3c104HalfEfEEvPKT_PS5_iiiiiilllllll
                                        ; -- End function
	.section	.AMDGPU.csdata,"",@progbits
; Kernel info:
; codeLenInByte = 8124
; NumSgprs: 54
; NumVgprs: 26
; NumAgprs: 0
; TotalNumVgprs: 26
; ScratchSize: 0
; MemoryBound: 0
; FloatMode: 240
; IeeeMode: 1
; LDSByteSize: 0 bytes/workgroup (compile time only)
; SGPRBlocks: 6
; VGPRBlocks: 3
; NumSGPRsForWavesPerEU: 54
; NumVGPRsForWavesPerEU: 26
; AccumOffset: 28
; Occupancy: 8
; WaveLimiterHint : 0
; COMPUTE_PGM_RSRC2:SCRATCH_EN: 0
; COMPUTE_PGM_RSRC2:USER_SGPR: 6
; COMPUTE_PGM_RSRC2:TRAP_HANDLER: 0
; COMPUTE_PGM_RSRC2:TGID_X_EN: 1
; COMPUTE_PGM_RSRC2:TGID_Y_EN: 1
; COMPUTE_PGM_RSRC2:TGID_Z_EN: 0
; COMPUTE_PGM_RSRC2:TIDIG_COMP_CNT: 1
; COMPUTE_PGM_RSRC3_GFX90A:ACCUM_OFFSET: 6
; COMPUTE_PGM_RSRC3_GFX90A:TG_SPLIT: 0
	.section	.text._ZN2at6native12_GLOBAL__N_119adaptiveaveragepoolIN3c108BFloat16EfEEvPKT_PS5_iiiiiilllllll,"axG",@progbits,_ZN2at6native12_GLOBAL__N_119adaptiveaveragepoolIN3c108BFloat16EfEEvPKT_PS5_iiiiiilllllll,comdat
	.globl	_ZN2at6native12_GLOBAL__N_119adaptiveaveragepoolIN3c108BFloat16EfEEvPKT_PS5_iiiiiilllllll ; -- Begin function _ZN2at6native12_GLOBAL__N_119adaptiveaveragepoolIN3c108BFloat16EfEEvPKT_PS5_iiiiiilllllll
	.p2align	8
	.type	_ZN2at6native12_GLOBAL__N_119adaptiveaveragepoolIN3c108BFloat16EfEEvPKT_PS5_iiiiiilllllll,@function
_ZN2at6native12_GLOBAL__N_119adaptiveaveragepoolIN3c108BFloat16EfEEvPKT_PS5_iiiiiilllllll: ; @_ZN2at6native12_GLOBAL__N_119adaptiveaveragepoolIN3c108BFloat16EfEEvPKT_PS5_iiiiiilllllll
; %bb.0:
	s_load_dwordx2 s[0:1], s[4:5], 0x58
	s_load_dwordx4 s[16:19], s[4:5], 0x10
	s_load_dwordx2 s[24:25], s[4:5], 0x20
	s_mov_b32 s10, 0
	s_waitcnt lgkmcnt(0)
	s_add_u32 s2, s6, s0
	s_addc_u32 s3, 0, s1
	s_ashr_i32 s9, s19, 31
	s_mov_b32 s8, s19
	s_or_b64 s[0:1], s[2:3], s[8:9]
	s_mov_b32 s11, s1
	s_cmp_lg_u64 s[10:11], 0
	s_cbranch_scc0 .LBB3_54
; %bb.1:
	s_add_u32 s0, s8, s9
	s_mov_b32 s12, s9
	s_mov_b32 s13, s9
	s_addc_u32 s1, s9, s9
	s_xor_b64 s[14:15], s[0:1], s[12:13]
	v_cvt_f32_u32_e32 v1, s14
	v_cvt_f32_u32_e32 v2, s15
	s_sub_u32 s0, 0, s14
	s_subb_u32 s1, 0, s15
	v_madmk_f32 v1, v2, 0x4f800000, v1
	v_rcp_f32_e32 v1, v1
	v_mul_f32_e32 v1, 0x5f7ffffc, v1
	v_mul_f32_e32 v2, 0x2f800000, v1
	v_trunc_f32_e32 v2, v2
	v_madmk_f32 v1, v2, 0xcf800000, v1
	v_cvt_u32_f32_e32 v2, v2
	v_cvt_u32_f32_e32 v1, v1
	v_readfirstlane_b32 s6, v2
	v_readfirstlane_b32 s19, v1
	s_mul_i32 s20, s0, s6
	s_mul_hi_u32 s22, s0, s19
	s_mul_i32 s21, s1, s19
	s_add_i32 s20, s22, s20
	s_add_i32 s20, s20, s21
	s_mul_i32 s23, s0, s19
	s_mul_hi_u32 s21, s19, s20
	s_mul_i32 s22, s19, s20
	s_mul_hi_u32 s19, s19, s23
	s_add_u32 s19, s19, s22
	s_addc_u32 s21, 0, s21
	s_mul_hi_u32 s26, s6, s23
	s_mul_i32 s23, s6, s23
	s_add_u32 s19, s19, s23
	s_mul_hi_u32 s22, s6, s20
	s_addc_u32 s19, s21, s26
	s_addc_u32 s21, s22, 0
	s_mul_i32 s20, s6, s20
	s_add_u32 s19, s19, s20
	s_addc_u32 s20, 0, s21
	v_add_co_u32_e32 v1, vcc, s19, v1
	s_cmp_lg_u64 vcc, 0
	s_addc_u32 s6, s6, s20
	v_readfirstlane_b32 s20, v1
	s_mul_i32 s19, s0, s6
	s_mul_hi_u32 s21, s0, s20
	s_add_i32 s19, s21, s19
	s_mul_i32 s1, s1, s20
	s_add_i32 s19, s19, s1
	s_mul_i32 s0, s0, s20
	s_mul_hi_u32 s21, s6, s0
	s_mul_i32 s22, s6, s0
	s_mul_i32 s26, s20, s19
	s_mul_hi_u32 s0, s20, s0
	s_mul_hi_u32 s23, s20, s19
	s_add_u32 s0, s0, s26
	s_addc_u32 s20, 0, s23
	s_add_u32 s0, s0, s22
	s_mul_hi_u32 s1, s6, s19
	s_addc_u32 s0, s20, s21
	s_addc_u32 s1, s1, 0
	s_mul_i32 s19, s6, s19
	s_add_u32 s0, s0, s19
	s_addc_u32 s1, 0, s1
	v_add_co_u32_e32 v1, vcc, s0, v1
	s_cmp_lg_u64 vcc, 0
	s_addc_u32 s6, s6, s1
	s_ashr_i32 s20, s3, 31
	s_add_u32 s0, s2, s20
	s_mov_b32 s21, s20
	s_addc_u32 s1, s3, s20
	s_xor_b64 s[22:23], s[0:1], s[20:21]
	v_readfirstlane_b32 s19, v1
	s_mul_i32 s1, s22, s6
	s_mul_hi_u32 s26, s22, s19
	s_mul_hi_u32 s0, s22, s6
	s_add_u32 s1, s26, s1
	s_addc_u32 s0, 0, s0
	s_mul_hi_u32 s27, s23, s19
	s_mul_i32 s19, s23, s19
	s_add_u32 s1, s1, s19
	s_mul_hi_u32 s26, s23, s6
	s_addc_u32 s0, s0, s27
	s_addc_u32 s1, s26, 0
	s_mul_i32 s6, s23, s6
	s_add_u32 s6, s0, s6
	s_addc_u32 s19, 0, s1
	s_mul_i32 s0, s14, s19
	s_mul_hi_u32 s1, s14, s6
	s_add_i32 s0, s1, s0
	s_mul_i32 s1, s15, s6
	s_add_i32 s26, s0, s1
	s_mul_i32 s1, s14, s6
	v_mov_b32_e32 v1, s1
	s_sub_i32 s0, s23, s26
	v_sub_co_u32_e32 v1, vcc, s22, v1
	s_cmp_lg_u64 vcc, 0
	s_subb_u32 s22, s0, s15
	v_subrev_co_u32_e64 v2, s[0:1], s14, v1
	s_cmp_lg_u64 s[0:1], 0
	s_subb_u32 s0, s22, 0
	s_cmp_ge_u32 s0, s15
	v_readfirstlane_b32 s22, v2
	s_cselect_b32 s1, -1, 0
	s_cmp_ge_u32 s22, s14
	s_cselect_b32 s22, -1, 0
	s_cmp_eq_u32 s0, s15
	s_cselect_b32 s0, s22, s1
	s_add_u32 s1, s6, 1
	s_addc_u32 s22, s19, 0
	s_add_u32 s27, s6, 2
	s_addc_u32 s28, s19, 0
	s_cmp_lg_u32 s0, 0
	s_cselect_b32 s0, s27, s1
	s_cselect_b32 s1, s28, s22
	s_cmp_lg_u64 vcc, 0
	s_subb_u32 s22, s23, s26
	s_cmp_ge_u32 s22, s15
	v_readfirstlane_b32 s26, v1
	s_cselect_b32 s23, -1, 0
	s_cmp_ge_u32 s26, s14
	s_cselect_b32 s14, -1, 0
	s_cmp_eq_u32 s22, s15
	s_cselect_b32 s14, s14, s23
	s_cmp_lg_u32 s14, 0
	s_cselect_b32 s1, s1, s19
	s_cselect_b32 s0, s0, s6
	s_xor_b64 s[12:13], s[20:21], s[12:13]
	s_xor_b64 s[0:1], s[0:1], s[12:13]
	s_sub_u32 s26, s0, s12
	s_subb_u32 s27, s1, s13
	v_cvt_f32_u32_e32 v1, s8
	s_cbranch_execnz .LBB3_3
.LBB3_2:
	v_rcp_iflag_f32_e32 v2, v1
	s_sub_i32 s0, 0, s8
	s_mov_b32 s27, 0
	v_mul_f32_e32 v2, 0x4f7ffffe, v2
	v_cvt_u32_f32_e32 v2, v2
	v_readfirstlane_b32 s1, v2
	s_mul_i32 s0, s0, s1
	s_mul_hi_u32 s0, s1, s0
	s_add_i32 s1, s1, s0
	s_mul_hi_u32 s0, s2, s1
	s_mul_i32 s6, s0, s8
	s_sub_i32 s6, s2, s6
	s_add_i32 s1, s0, 1
	s_sub_i32 s10, s6, s8
	s_cmp_ge_u32 s6, s8
	s_cselect_b32 s0, s1, s0
	s_cselect_b32 s6, s10, s6
	s_add_i32 s1, s0, 1
	s_cmp_ge_u32 s6, s8
	s_cselect_b32 s26, s1, s0
.LBB3_3:
	s_mul_i32 s0, s26, s9
	s_mul_hi_u32 s1, s26, s8
	s_add_i32 s0, s1, s0
	s_mul_i32 s1, s27, s8
	s_add_i32 s0, s0, s1
	s_mul_i32 s1, s26, s8
	s_sub_u32 s1, s2, s1
	s_subb_u32 s0, s3, s0
	s_ashr_i32 s6, s16, 31
	s_mul_i32 s10, s1, s6
	s_mul_hi_u32 s11, s1, s16
	s_add_i32 s10, s11, s10
	s_mul_i32 s0, s0, s16
	s_add_i32 s11, s10, s0
	s_mul_i32 s10, s1, s16
	s_or_b64 s[0:1], s[10:11], s[8:9]
	s_mov_b32 s0, 0
	s_cmp_lg_u64 s[0:1], 0
	s_cbranch_scc0 .LBB3_55
; %bb.4:
	s_add_u32 s0, s8, s9
	s_mov_b32 s12, s9
	s_mov_b32 s13, s9
	s_addc_u32 s1, s9, s9
	s_xor_b64 s[20:21], s[0:1], s[12:13]
	v_cvt_f32_u32_e32 v2, s20
	v_cvt_f32_u32_e32 v3, s21
	s_sub_u32 s0, 0, s20
	s_subb_u32 s1, 0, s21
	v_madmk_f32 v2, v3, 0x4f800000, v2
	v_rcp_f32_e32 v2, v2
	v_mul_f32_e32 v2, 0x5f7ffffc, v2
	v_mul_f32_e32 v3, 0x2f800000, v2
	v_trunc_f32_e32 v3, v3
	v_madmk_f32 v2, v3, 0xcf800000, v2
	v_cvt_u32_f32_e32 v3, v3
	v_cvt_u32_f32_e32 v2, v2
	v_readfirstlane_b32 s19, v3
	v_readfirstlane_b32 s22, v2
	s_mul_i32 s23, s0, s19
	s_mul_hi_u32 s29, s0, s22
	s_mul_i32 s28, s1, s22
	s_add_i32 s23, s29, s23
	s_add_i32 s23, s23, s28
	s_mul_i32 s30, s0, s22
	s_mul_hi_u32 s28, s22, s23
	s_mul_i32 s29, s22, s23
	s_mul_hi_u32 s22, s22, s30
	s_add_u32 s22, s22, s29
	s_addc_u32 s28, 0, s28
	s_mul_hi_u32 s31, s19, s30
	s_mul_i32 s30, s19, s30
	s_add_u32 s22, s22, s30
	s_mul_hi_u32 s29, s19, s23
	s_addc_u32 s22, s28, s31
	s_addc_u32 s28, s29, 0
	s_mul_i32 s23, s19, s23
	s_add_u32 s22, s22, s23
	s_addc_u32 s23, 0, s28
	v_add_co_u32_e32 v2, vcc, s22, v2
	s_cmp_lg_u64 vcc, 0
	s_addc_u32 s19, s19, s23
	v_readfirstlane_b32 s23, v2
	s_mul_i32 s22, s0, s19
	s_mul_hi_u32 s28, s0, s23
	s_add_i32 s22, s28, s22
	s_mul_i32 s1, s1, s23
	s_add_i32 s22, s22, s1
	s_mul_i32 s0, s0, s23
	s_mul_hi_u32 s28, s19, s0
	s_mul_i32 s29, s19, s0
	s_mul_i32 s31, s23, s22
	s_mul_hi_u32 s0, s23, s0
	s_mul_hi_u32 s30, s23, s22
	s_add_u32 s0, s0, s31
	s_addc_u32 s23, 0, s30
	s_add_u32 s0, s0, s29
	s_mul_hi_u32 s1, s19, s22
	s_addc_u32 s0, s23, s28
	s_addc_u32 s1, s1, 0
	s_mul_i32 s22, s19, s22
	s_add_u32 s0, s0, s22
	s_addc_u32 s1, 0, s1
	v_add_co_u32_e32 v2, vcc, s0, v2
	s_cmp_lg_u64 vcc, 0
	s_addc_u32 s19, s19, s1
	s_ashr_i32 s22, s11, 31
	s_add_u32 s0, s10, s22
	s_mov_b32 s23, s22
	s_addc_u32 s1, s11, s22
	s_xor_b64 s[28:29], s[0:1], s[22:23]
	v_readfirstlane_b32 s30, v2
	s_mul_i32 s1, s28, s19
	s_mul_hi_u32 s31, s28, s30
	s_mul_hi_u32 s0, s28, s19
	s_add_u32 s1, s31, s1
	s_addc_u32 s0, 0, s0
	s_mul_hi_u32 s33, s29, s30
	s_mul_i32 s30, s29, s30
	s_add_u32 s1, s1, s30
	s_mul_hi_u32 s31, s29, s19
	s_addc_u32 s0, s0, s33
	s_addc_u32 s1, s31, 0
	s_mul_i32 s19, s29, s19
	s_add_u32 s19, s0, s19
	s_addc_u32 s0, 0, s1
	s_mul_i32 s0, s20, s0
	s_mul_hi_u32 s1, s20, s19
	s_add_i32 s0, s1, s0
	s_mul_i32 s1, s21, s19
	s_add_i32 s30, s0, s1
	s_mul_i32 s1, s20, s19
	v_mov_b32_e32 v2, s1
	s_sub_i32 s0, s29, s30
	v_sub_co_u32_e32 v2, vcc, s28, v2
	s_cmp_lg_u64 vcc, 0
	s_subb_u32 s28, s0, s21
	v_subrev_co_u32_e64 v3, s[0:1], s20, v2
	s_cmp_lg_u64 s[0:1], 0
	s_subb_u32 s28, s28, 0
	s_cmp_ge_u32 s28, s21
	s_cselect_b32 s31, -1, 0
	v_cmp_le_u32_e64 s[0:1], s20, v3
	s_cmp_eq_u32 s28, s21
	v_cndmask_b32_e64 v3, 0, -1, s[0:1]
	v_mov_b32_e32 v4, s31
	s_cselect_b64 s[0:1], -1, 0
	v_cndmask_b32_e64 v3, v4, v3, s[0:1]
	s_add_u32 s0, s19, 1
	s_add_u32 s1, s19, 2
	v_mov_b32_e32 v4, s0
	v_mov_b32_e32 v5, s1
	v_cmp_ne_u32_e64 s[0:1], 0, v3
	s_cmp_lg_u64 vcc, 0
	v_cndmask_b32_e64 v3, v4, v5, s[0:1]
	s_subb_u32 s0, s29, s30
	s_cmp_ge_u32 s0, s21
	s_cselect_b32 s1, -1, 0
	v_cmp_le_u32_e32 vcc, s20, v2
	s_cmp_eq_u32 s0, s21
	v_cndmask_b32_e64 v2, 0, -1, vcc
	v_mov_b32_e32 v4, s1
	s_cselect_b64 vcc, -1, 0
	v_cndmask_b32_e32 v2, v4, v2, vcc
	v_mov_b32_e32 v4, s19
	v_cmp_ne_u32_e32 vcc, 0, v2
	v_cndmask_b32_e32 v2, v4, v3, vcc
	s_xor_b64 s[0:1], s[22:23], s[12:13]
	v_xor_b32_e32 v2, s0, v2
	v_subrev_co_u32_e32 v2, vcc, s0, v2
	s_cbranch_execnz .LBB3_6
.LBB3_5:
	v_rcp_iflag_f32_e32 v2, v1
	s_sub_i32 s0, 0, s8
	v_mul_f32_e32 v2, 0x4f7ffffe, v2
	v_cvt_u32_f32_e32 v2, v2
	v_mul_lo_u32 v3, s0, v2
	v_mul_hi_u32 v3, v2, v3
	v_add_u32_e32 v2, v2, v3
	v_mul_hi_u32 v2, s10, v2
	v_mul_lo_u32 v4, v2, s8
	v_sub_u32_e32 v4, s10, v4
	v_add_u32_e32 v3, 1, v2
	v_subrev_u32_e32 v5, s8, v4
	v_cmp_le_u32_e32 vcc, s8, v4
	v_cndmask_b32_e32 v4, v4, v5, vcc
	v_cndmask_b32_e32 v2, v2, v3, vcc
	v_add_u32_e32 v3, 1, v2
	v_cmp_le_u32_e32 vcc, s8, v4
	v_cndmask_b32_e32 v2, v2, v3, vcc
.LBB3_6:
	s_add_u32 s0, s10, s16
	s_addc_u32 s1, s11, s6
	s_add_u32 s10, s0, -1
	s_addc_u32 s11, s1, -1
	s_or_b64 s[0:1], s[10:11], s[8:9]
	s_mov_b32 s0, 0
	s_cmp_lg_u64 s[0:1], 0
	s_mov_b64 s[12:13], -1
	s_cbranch_scc0 .LBB3_56
; %bb.7:
	s_add_u32 s0, s8, s9
	s_mov_b32 s14, s9
	s_mov_b32 s15, s9
	s_addc_u32 s1, s9, s9
	s_xor_b64 s[20:21], s[0:1], s[14:15]
	v_cvt_f32_u32_e32 v3, s20
	v_cvt_f32_u32_e32 v4, s21
	s_sub_u32 s0, 0, s20
	s_subb_u32 s1, 0, s21
	v_madmk_f32 v3, v4, 0x4f800000, v3
	v_rcp_f32_e32 v3, v3
	v_mul_f32_e32 v3, 0x5f7ffffc, v3
	v_mul_f32_e32 v4, 0x2f800000, v3
	v_trunc_f32_e32 v4, v4
	v_madmk_f32 v3, v4, 0xcf800000, v3
	v_cvt_u32_f32_e32 v4, v4
	v_cvt_u32_f32_e32 v3, v3
	v_readfirstlane_b32 s6, v4
	v_readfirstlane_b32 s9, v3
	s_mul_i32 s16, s0, s6
	s_mul_hi_u32 s22, s0, s9
	s_mul_i32 s19, s1, s9
	s_add_i32 s16, s22, s16
	s_add_i32 s16, s16, s19
	s_mul_i32 s23, s0, s9
	s_mul_hi_u32 s19, s9, s16
	s_mul_i32 s22, s9, s16
	s_mul_hi_u32 s9, s9, s23
	s_add_u32 s9, s9, s22
	s_addc_u32 s19, 0, s19
	s_mul_hi_u32 s28, s6, s23
	s_mul_i32 s23, s6, s23
	s_add_u32 s9, s9, s23
	s_mul_hi_u32 s22, s6, s16
	s_addc_u32 s9, s19, s28
	s_addc_u32 s19, s22, 0
	s_mul_i32 s16, s6, s16
	s_add_u32 s9, s9, s16
	s_addc_u32 s16, 0, s19
	v_add_co_u32_e32 v3, vcc, s9, v3
	s_cmp_lg_u64 vcc, 0
	s_addc_u32 s6, s6, s16
	v_readfirstlane_b32 s16, v3
	s_mul_i32 s9, s0, s6
	s_mul_hi_u32 s19, s0, s16
	s_add_i32 s9, s19, s9
	s_mul_i32 s1, s1, s16
	s_add_i32 s9, s9, s1
	s_mul_i32 s0, s0, s16
	s_mul_hi_u32 s19, s6, s0
	s_mul_i32 s22, s6, s0
	s_mul_i32 s28, s16, s9
	s_mul_hi_u32 s0, s16, s0
	s_mul_hi_u32 s23, s16, s9
	s_add_u32 s0, s0, s28
	s_addc_u32 s16, 0, s23
	s_add_u32 s0, s0, s22
	s_mul_hi_u32 s1, s6, s9
	s_addc_u32 s0, s16, s19
	s_addc_u32 s1, s1, 0
	s_mul_i32 s9, s6, s9
	s_add_u32 s0, s0, s9
	s_addc_u32 s1, 0, s1
	v_add_co_u32_e32 v3, vcc, s0, v3
	s_cmp_lg_u64 vcc, 0
	s_addc_u32 s6, s6, s1
	s_ashr_i32 s22, s11, 31
	s_add_u32 s0, s10, s22
	s_mov_b32 s23, s22
	s_addc_u32 s1, s11, s22
	s_xor_b64 s[28:29], s[0:1], s[22:23]
	v_readfirstlane_b32 s9, v3
	s_mul_i32 s1, s28, s6
	s_mul_hi_u32 s11, s28, s9
	s_mul_hi_u32 s0, s28, s6
	s_add_u32 s1, s11, s1
	s_addc_u32 s0, 0, s0
	s_mul_hi_u32 s16, s29, s9
	s_mul_i32 s9, s29, s9
	s_add_u32 s1, s1, s9
	s_mul_hi_u32 s11, s29, s6
	s_addc_u32 s0, s0, s16
	s_addc_u32 s1, s11, 0
	s_mul_i32 s6, s29, s6
	s_add_u32 s6, s0, s6
	s_addc_u32 s0, 0, s1
	s_mul_i32 s0, s20, s0
	s_mul_hi_u32 s1, s20, s6
	s_add_i32 s0, s1, s0
	s_mul_i32 s1, s21, s6
	s_add_i32 s9, s0, s1
	s_mul_i32 s1, s20, s6
	v_mov_b32_e32 v3, s1
	s_sub_i32 s0, s29, s9
	v_sub_co_u32_e32 v3, vcc, s28, v3
	s_cmp_lg_u64 vcc, 0
	s_subb_u32 s11, s0, s21
	v_subrev_co_u32_e64 v4, s[0:1], s20, v3
	s_cmp_lg_u64 s[0:1], 0
	s_subb_u32 s11, s11, 0
	s_cmp_ge_u32 s11, s21
	s_cselect_b32 s16, -1, 0
	v_cmp_le_u32_e64 s[0:1], s20, v4
	s_cmp_eq_u32 s11, s21
	v_cndmask_b32_e64 v4, 0, -1, s[0:1]
	v_mov_b32_e32 v5, s16
	s_cselect_b64 s[0:1], -1, 0
	v_cndmask_b32_e64 v4, v5, v4, s[0:1]
	s_add_u32 s0, s6, 1
	s_add_u32 s1, s6, 2
	v_mov_b32_e32 v5, s0
	v_mov_b32_e32 v6, s1
	v_cmp_ne_u32_e64 s[0:1], 0, v4
	s_cmp_lg_u64 vcc, 0
	v_cndmask_b32_e64 v4, v5, v6, s[0:1]
	s_subb_u32 s0, s29, s9
	s_cmp_ge_u32 s0, s21
	s_cselect_b32 s1, -1, 0
	v_cmp_le_u32_e32 vcc, s20, v3
	s_cmp_eq_u32 s0, s21
	v_cndmask_b32_e64 v3, 0, -1, vcc
	v_mov_b32_e32 v5, s1
	s_cselect_b64 vcc, -1, 0
	v_cndmask_b32_e32 v3, v5, v3, vcc
	v_mov_b32_e32 v5, s6
	v_cmp_ne_u32_e32 vcc, 0, v3
	v_cndmask_b32_e32 v3, v5, v4, vcc
	s_xor_b64 s[0:1], s[22:23], s[14:15]
	v_xor_b32_e32 v3, s0, v3
	v_subrev_co_u32_e32 v6, vcc, s0, v3
	s_load_dword s16, s[4:5], 0x6c
	s_cbranch_execnz .LBB3_9
.LBB3_8:
	v_rcp_iflag_f32_e32 v1, v1
	s_sub_i32 s0, 0, s8
	v_mul_f32_e32 v1, 0x4f7ffffe, v1
	v_cvt_u32_f32_e32 v1, v1
	v_mul_lo_u32 v3, s0, v1
	v_mul_hi_u32 v3, v1, v3
	v_add_u32_e32 v1, v1, v3
	v_mul_hi_u32 v1, s10, v1
	v_mul_lo_u32 v4, v1, s8
	v_sub_u32_e32 v4, s10, v4
	v_add_u32_e32 v3, 1, v1
	v_subrev_u32_e32 v5, s8, v4
	v_cmp_le_u32_e32 vcc, s8, v4
	v_cndmask_b32_e32 v4, v4, v5, vcc
	v_cndmask_b32_e32 v1, v1, v3, vcc
	v_add_u32_e32 v3, 1, v1
	v_cmp_le_u32_e32 vcc, s8, v4
	v_cndmask_b32_e32 v6, v1, v3, vcc
.LBB3_9:
	s_waitcnt lgkmcnt(0)
	s_lshr_b32 s38, s16, 16
	s_mul_i32 s7, s7, s38
	v_bfe_u32 v1, v0, 10, 10
	v_add_u32_e32 v4, s7, v1
	v_cmp_gt_i32_e32 vcc, s24, v4
	s_and_saveexec_b64 s[0:1], vcc
	s_cbranch_execz .LBB3_53
; %bb.10:
	s_load_dwordx8 s[8:15], s[4:5], 0x28
	s_load_dwordx4 s[20:23], s[4:5], 0x48
	s_bfe_i64 s[28:29], s[26:27], 0x200000
	s_mov_b32 s0, 0
	s_waitcnt lgkmcnt(0)
	s_or_b64 s[6:7], s[28:29], s[8:9]
	s_mov_b32 s1, s7
	s_cmp_lg_u64 s[0:1], 0
	s_cbranch_scc0 .LBB3_57
; %bb.11:
	s_ashr_i32 s30, s9, 31
	s_add_u32 s0, s8, s30
	s_mov_b32 s31, s30
	s_addc_u32 s1, s9, s30
	s_xor_b64 s[34:35], s[0:1], s[30:31]
	v_cvt_f32_u32_e32 v1, s34
	v_cvt_f32_u32_e32 v3, s35
	s_sub_u32 s0, 0, s34
	s_subb_u32 s1, 0, s35
	v_madmk_f32 v1, v3, 0x4f800000, v1
	v_rcp_f32_e32 v1, v1
	v_mul_f32_e32 v1, 0x5f7ffffc, v1
	v_mul_f32_e32 v3, 0x2f800000, v1
	v_trunc_f32_e32 v3, v3
	v_madmk_f32 v1, v3, 0xcf800000, v1
	v_cvt_u32_f32_e32 v3, v3
	v_cvt_u32_f32_e32 v1, v1
	v_readfirstlane_b32 s19, v3
	v_readfirstlane_b32 s27, v1
	s_mul_i32 s33, s0, s19
	s_mul_hi_u32 s37, s0, s27
	s_mul_i32 s36, s1, s27
	s_add_i32 s33, s37, s33
	s_add_i32 s33, s33, s36
	s_mul_i32 s39, s0, s27
	s_mul_hi_u32 s36, s27, s33
	s_mul_i32 s37, s27, s33
	s_mul_hi_u32 s27, s27, s39
	s_add_u32 s27, s27, s37
	s_addc_u32 s36, 0, s36
	s_mul_hi_u32 s40, s19, s39
	s_mul_i32 s39, s19, s39
	s_add_u32 s27, s27, s39
	s_mul_hi_u32 s37, s19, s33
	s_addc_u32 s27, s36, s40
	s_addc_u32 s36, s37, 0
	s_mul_i32 s33, s19, s33
	s_add_u32 s27, s27, s33
	s_addc_u32 s33, 0, s36
	v_add_co_u32_e32 v1, vcc, s27, v1
	s_cmp_lg_u64 vcc, 0
	s_addc_u32 s19, s19, s33
	v_readfirstlane_b32 s33, v1
	s_mul_i32 s27, s0, s19
	s_mul_hi_u32 s36, s0, s33
	s_add_i32 s27, s36, s27
	s_mul_i32 s1, s1, s33
	s_add_i32 s27, s27, s1
	s_mul_i32 s0, s0, s33
	s_mul_hi_u32 s36, s19, s0
	s_mul_i32 s37, s19, s0
	s_mul_i32 s40, s33, s27
	s_mul_hi_u32 s0, s33, s0
	s_mul_hi_u32 s39, s33, s27
	s_add_u32 s0, s0, s40
	s_addc_u32 s33, 0, s39
	s_add_u32 s0, s0, s37
	s_mul_hi_u32 s1, s19, s27
	s_addc_u32 s0, s33, s36
	s_addc_u32 s1, s1, 0
	s_mul_i32 s27, s19, s27
	s_add_u32 s0, s0, s27
	s_addc_u32 s1, 0, s1
	v_add_co_u32_e32 v1, vcc, s0, v1
	s_cmp_lg_u64 vcc, 0
	s_addc_u32 s19, s19, s1
	s_add_u32 s0, s28, s29
	s_mov_b32 s36, s29
	s_mov_b32 s37, s29
	s_addc_u32 s1, s29, s29
	s_xor_b64 s[40:41], s[0:1], s[36:37]
	v_readfirstlane_b32 s27, v1
	s_mul_i32 s1, s40, s19
	s_mul_hi_u32 s33, s40, s27
	s_mul_hi_u32 s0, s40, s19
	s_add_u32 s1, s33, s1
	s_addc_u32 s0, 0, s0
	s_mul_hi_u32 s39, s41, s27
	s_mul_i32 s27, s41, s27
	s_add_u32 s1, s1, s27
	s_mul_hi_u32 s33, s41, s19
	s_addc_u32 s0, s0, s39
	s_addc_u32 s1, s33, 0
	s_mul_i32 s19, s41, s19
	s_add_u32 s19, s0, s19
	s_addc_u32 s27, 0, s1
	s_mul_i32 s0, s34, s27
	s_mul_hi_u32 s1, s34, s19
	s_add_i32 s0, s1, s0
	s_mul_i32 s1, s35, s19
	s_add_i32 s33, s0, s1
	s_mul_i32 s1, s34, s19
	v_mov_b32_e32 v1, s1
	s_sub_i32 s0, s41, s33
	v_sub_co_u32_e32 v1, vcc, s40, v1
	s_cmp_lg_u64 vcc, 0
	s_subb_u32 s39, s0, s35
	v_subrev_co_u32_e64 v3, s[0:1], s34, v1
	s_cmp_lg_u64 s[0:1], 0
	s_subb_u32 s0, s39, 0
	s_cmp_ge_u32 s0, s35
	v_readfirstlane_b32 s39, v3
	s_cselect_b32 s1, -1, 0
	s_cmp_ge_u32 s39, s34
	s_cselect_b32 s39, -1, 0
	s_cmp_eq_u32 s0, s35
	s_cselect_b32 s0, s39, s1
	s_add_u32 s1, s19, 1
	s_addc_u32 s39, s27, 0
	s_add_u32 s40, s19, 2
	s_addc_u32 s42, s27, 0
	s_cmp_lg_u32 s0, 0
	s_cselect_b32 s0, s40, s1
	s_cselect_b32 s1, s42, s39
	s_cmp_lg_u64 vcc, 0
	s_subb_u32 s33, s41, s33
	s_cmp_ge_u32 s33, s35
	v_readfirstlane_b32 s40, v1
	s_cselect_b32 s39, -1, 0
	s_cmp_ge_u32 s40, s34
	s_cselect_b32 s34, -1, 0
	s_cmp_eq_u32 s33, s35
	s_cselect_b32 s33, s34, s39
	s_cmp_lg_u32 s33, 0
	s_cselect_b32 s1, s1, s27
	s_cselect_b32 s0, s0, s19
	s_xor_b64 s[30:31], s[36:37], s[30:31]
	s_xor_b64 s[0:1], s[0:1], s[30:31]
	s_sub_u32 s30, s0, s30
	s_subb_u32 s31, s1, s31
	s_load_dword s0, s[4:5], 0x64
	s_cbranch_execnz .LBB3_13
.LBB3_12:
	v_cvt_f32_u32_e32 v1, s8
	s_sub_i32 s6, 0, s8
	s_mov_b32 s31, 0
	v_rcp_iflag_f32_e32 v1, v1
	v_mul_f32_e32 v1, 0x4f7ffffe, v1
	v_cvt_u32_f32_e32 v1, v1
	v_readfirstlane_b32 s7, v1
	s_mul_i32 s6, s6, s7
	s_mul_hi_u32 s6, s7, s6
	s_add_i32 s7, s7, s6
	s_mul_hi_u32 s6, s26, s7
	s_mul_i32 s19, s6, s8
	s_sub_i32 s1, s26, s19
	s_add_i32 s7, s6, 1
	s_sub_i32 s19, s1, s8
	s_cmp_ge_u32 s1, s8
	s_cselect_b32 s6, s7, s6
	s_cselect_b32 s1, s19, s1
	s_add_i32 s7, s6, 1
	s_cmp_ge_u32 s1, s8
	s_cselect_b32 s30, s7, s6
.LBB3_13:
	s_load_dwordx4 s[4:7], s[4:5], 0x0
	s_mul_i32 s26, s25, s24
	s_mul_hi_i32 s1, s25, s24
	s_mul_i32 s3, s26, s3
	s_mul_hi_u32 s27, s26, s2
	s_add_i32 s3, s27, s3
	s_mul_i32 s1, s1, s2
	s_add_i32 s3, s3, s1
	s_mul_i32 s2, s26, s2
	s_ashr_i32 s19, s24, 31
	s_ashr_i32 s34, s25, 31
	s_lshl_b64 s[2:3], s[2:3], 1
	s_mov_b32 s33, s24
	s_waitcnt lgkmcnt(0)
	s_add_u32 s36, s6, s2
	s_mul_i32 s38, s0, s38
	s_mul_i32 s0, s30, s9
	s_mul_hi_u32 s1, s30, s8
	s_addc_u32 s37, s7, s3
	v_and_b32_e32 v16, 0x3ff, v0
	s_add_i32 s0, s1, s0
	s_mul_i32 s1, s31, s8
	v_cvt_f32_u32_e32 v0, s33
	s_and_b32 s39, s16, 0xffff
	s_add_i32 s0, s0, s1
	s_mul_i32 s1, s30, s8
	s_sub_u32 s8, s28, s1
	s_subb_u32 s9, s29, s0
	s_bfe_i64 s[6:7], s[30:31], 0x200000
	s_mul_i32 s6, s30, s11
	s_mul_hi_u32 s11, s30, s10
	v_rcp_iflag_f32_e32 v0, v0
	s_add_i32 s6, s11, s6
	s_mul_i32 s7, s7, s10
	s_add_i32 s7, s6, s7
	s_mul_i32 s6, s30, s10
	s_mul_i32 s10, s8, s13
	s_mul_hi_u32 s11, s8, s12
	s_add_i32 s10, s11, s10
	s_mul_i32 s9, s9, s12
	s_ashr_i32 s40, s17, 31
	s_ashr_i32 s42, s18, 31
	s_add_i32 s9, s10, s9
	s_lshl_b64 s[6:7], s[6:7], 1
	v_mul_f32_e32 v0, 0x4f7ffffe, v0
	s_mul_i32 s8, s8, s12
	s_add_u32 s6, s4, s6
	v_cvt_u32_f32_e32 v18, v0
	v_sub_u32_e32 v1, v6, v2
	s_addc_u32 s7, s5, s7
	s_lshl_b64 s[4:5], s[8:9], 1
	v_add_u32_e32 v5, 1, v1
	s_brev_b32 s2, -2
	s_add_u32 s43, s6, s4
	s_mov_b32 s35, s25
	s_mov_b32 s41, s17
	v_cmp_gt_i32_e64 s[0:1], s25, v16
	v_cmp_gt_u32_e64 s[2:3], s2, v1
	s_addc_u32 s44, s7, s5
	v_max_i32_e32 v17, 1, v5
	s_mov_b64 s[8:9], 0
	v_mov_b32_e32 v1, 0
	s_movk_i32 s45, 0x7fff
	v_mov_b32_e32 v19, 0x7fc0
	s_branch .LBB3_15
.LBB3_14:                               ;   in Loop: Header=BB3_15 Depth=1
	s_or_b64 exec, exec, s[10:11]
	v_add_u32_e32 v4, s38, v4
	v_cmp_le_i32_e32 vcc, s24, v4
	s_or_b64 s[8:9], vcc, s[8:9]
	s_andn2_b64 exec, exec, s[8:9]
	s_cbranch_execz .LBB3_53
.LBB3_15:                               ; =>This Loop Header: Depth=1
                                        ;     Child Loop BB3_30 Depth 2
                                        ;       Child Loop BB3_46 Depth 3
                                        ;         Child Loop BB3_49 Depth 4
                                        ;           Child Loop BB3_51 Depth 5
	v_ashrrev_i32_e32 v3, 31, v4
	v_or_b32_e32 v7, s19, v3
	v_mov_b32_e32 v6, v1
	v_cmp_ne_u64_e32 vcc, 0, v[6:7]
                                        ; implicit-def: $vgpr6_vgpr7
	s_and_saveexec_b64 s[4:5], vcc
	s_xor_b64 s[4:5], exec, s[4:5]
	s_cbranch_execz .LBB3_17
; %bb.16:                               ;   in Loop: Header=BB3_15 Depth=1
	s_ashr_i32 s6, s33, 31
	s_add_i32 s7, s33, s6
	s_xor_b32 s7, s7, s6
	v_cvt_f32_u32_e32 v0, s7
	s_sub_i32 s10, 0, s7
	v_ashrrev_i32_e32 v6, 31, v4
	v_add_u32_e32 v7, v4, v6
	v_rcp_iflag_f32_e32 v0, v0
	v_xor_b32_e32 v7, v7, v6
	v_xor_b32_e32 v6, s6, v6
	v_mul_f32_e32 v0, 0x4f7ffffe, v0
	v_cvt_u32_f32_e32 v0, v0
	v_mul_lo_u32 v8, s10, v0
	v_mul_hi_u32 v8, v0, v8
	v_add_u32_e32 v0, v0, v8
	v_mul_hi_u32 v0, v7, v0
	v_mul_lo_u32 v8, v0, s7
	v_sub_u32_e32 v7, v7, v8
	v_add_u32_e32 v9, 1, v0
	v_subrev_u32_e32 v8, s7, v7
	v_cmp_le_u32_e32 vcc, s7, v7
	v_cndmask_b32_e32 v7, v7, v8, vcc
	v_cndmask_b32_e32 v0, v0, v9, vcc
	v_add_u32_e32 v8, 1, v0
	v_cmp_le_u32_e32 vcc, s7, v7
	v_cndmask_b32_e32 v0, v0, v8, vcc
	v_xor_b32_e32 v0, v0, v6
	v_sub_u32_e32 v6, v0, v6
	v_ashrrev_i32_e32 v7, 31, v6
.LBB3_17:                               ;   in Loop: Header=BB3_15 Depth=1
	s_andn2_saveexec_b64 s[4:5], s[4:5]
	s_cbranch_execz .LBB3_19
; %bb.18:                               ;   in Loop: Header=BB3_15 Depth=1
	s_sub_i32 s6, 0, s33
	v_mul_lo_u32 v0, s6, v18
	v_mul_hi_u32 v0, v18, v0
	v_add_u32_e32 v0, v18, v0
	v_mul_hi_u32 v0, v4, v0
	v_mul_lo_u32 v6, v0, s33
	v_sub_u32_e32 v6, v4, v6
	v_subrev_u32_e32 v7, s33, v6
	v_cmp_le_u32_e32 vcc, s33, v6
	v_cndmask_b32_e32 v6, v6, v7, vcc
	v_add_u32_e32 v7, 1, v0
	v_cndmask_b32_e32 v0, v0, v7, vcc
	v_add_u32_e32 v7, 1, v0
	v_cmp_le_u32_e32 vcc, s33, v6
	v_cndmask_b32_e32 v0, v0, v7, vcc
	v_pk_mov_b32 v[6:7], v[0:1], v[0:1] op_sel:[0,1]
.LBB3_19:                               ;   in Loop: Header=BB3_15 Depth=1
	s_or_b64 exec, exec, s[4:5]
	v_mul_lo_u32 v0, v7, s33
	v_mul_lo_u32 v7, v6, s19
	v_mad_u64_u32 v[8:9], s[4:5], v6, s33, 0
	v_add3_u32 v0, v9, v7, v0
	v_sub_co_u32_e32 v7, vcc, v4, v8
	v_subb_co_u32_e32 v0, vcc, v3, v0, vcc
	v_mul_lo_u32 v0, v0, s41
	v_mul_lo_u32 v8, v7, s40
	v_mad_u64_u32 v[10:11], s[4:5], v7, s41, 0
	v_add3_u32 v11, v11, v8, v0
	v_or_b32_e32 v9, s19, v11
	v_mov_b32_e32 v8, v1
	v_cmp_ne_u64_e32 vcc, 0, v[8:9]
                                        ; implicit-def: $vgpr8_vgpr9
	s_and_saveexec_b64 s[4:5], vcc
	s_xor_b64 s[6:7], exec, s[4:5]
	s_cbranch_execz .LBB3_21
; %bb.20:                               ;   in Loop: Header=BB3_15 Depth=1
	s_add_u32 s4, s33, s19
	s_mov_b32 s10, s19
	s_mov_b32 s11, s19
	s_addc_u32 s5, s19, s19
	s_xor_b64 s[12:13], s[4:5], s[10:11]
	v_cvt_f32_u32_e32 v0, s12
	v_cvt_f32_u32_e32 v7, s13
	s_sub_u32 s4, 0, s12
	s_subb_u32 s5, 0, s13
	v_mac_f32_e32 v0, 0x4f800000, v7
	v_rcp_f32_e32 v0, v0
	v_mul_f32_e32 v0, 0x5f7ffffc, v0
	v_mul_f32_e32 v7, 0x2f800000, v0
	v_trunc_f32_e32 v7, v7
	v_mac_f32_e32 v0, 0xcf800000, v7
	v_cvt_u32_f32_e32 v7, v7
	v_cvt_u32_f32_e32 v0, v0
	v_mul_lo_u32 v8, s4, v7
	v_mul_hi_u32 v12, s4, v0
	v_mul_lo_u32 v9, s5, v0
	v_add_u32_e32 v8, v12, v8
	v_mul_lo_u32 v13, s4, v0
	v_add_u32_e32 v8, v8, v9
	v_mul_lo_u32 v12, v0, v8
	v_mul_hi_u32 v14, v0, v13
	v_mul_hi_u32 v9, v0, v8
	v_add_co_u32_e32 v12, vcc, v14, v12
	v_addc_co_u32_e32 v9, vcc, 0, v9, vcc
	v_mul_hi_u32 v15, v7, v13
	v_mul_lo_u32 v13, v7, v13
	v_add_co_u32_e32 v12, vcc, v12, v13
	v_mul_hi_u32 v14, v7, v8
	v_addc_co_u32_e32 v9, vcc, v9, v15, vcc
	v_addc_co_u32_e32 v12, vcc, 0, v14, vcc
	v_mul_lo_u32 v8, v7, v8
	v_add_co_u32_e32 v8, vcc, v9, v8
	v_addc_co_u32_e32 v9, vcc, 0, v12, vcc
	v_add_co_u32_e32 v0, vcc, v0, v8
	v_addc_co_u32_e32 v7, vcc, v7, v9, vcc
	v_mul_lo_u32 v8, s4, v7
	v_mul_hi_u32 v9, s4, v0
	v_add_u32_e32 v8, v9, v8
	v_mul_lo_u32 v9, s5, v0
	v_add_u32_e32 v8, v8, v9
	v_mul_lo_u32 v12, s4, v0
	v_mul_hi_u32 v13, v7, v12
	v_mul_lo_u32 v14, v7, v12
	v_mul_lo_u32 v20, v0, v8
	v_mul_hi_u32 v12, v0, v12
	v_mul_hi_u32 v15, v0, v8
	v_add_co_u32_e32 v12, vcc, v12, v20
	v_addc_co_u32_e32 v15, vcc, 0, v15, vcc
	v_add_co_u32_e32 v12, vcc, v12, v14
	v_mul_hi_u32 v9, v7, v8
	v_addc_co_u32_e32 v12, vcc, v15, v13, vcc
	v_addc_co_u32_e32 v9, vcc, 0, v9, vcc
	v_mul_lo_u32 v8, v7, v8
	v_add_co_u32_e32 v8, vcc, v12, v8
	v_addc_co_u32_e32 v9, vcc, 0, v9, vcc
	v_add_co_u32_e32 v0, vcc, v0, v8
	v_addc_co_u32_e32 v7, vcc, v7, v9, vcc
	v_ashrrev_i32_e32 v12, 31, v11
	v_add_co_u32_e32 v8, vcc, v10, v12
	v_addc_co_u32_e32 v9, vcc, v11, v12, vcc
	v_xor_b32_e32 v14, v8, v12
	v_xor_b32_e32 v13, v9, v12
	v_mad_u64_u32 v[8:9], s[4:5], v14, v7, 0
	v_mul_hi_u32 v10, v14, v0
	v_add_co_u32_e32 v15, vcc, v10, v8
	v_addc_co_u32_e32 v20, vcc, 0, v9, vcc
	v_mad_u64_u32 v[10:11], s[4:5], v13, v0, 0
	v_add_co_u32_e32 v0, vcc, v15, v10
	v_mad_u64_u32 v[8:9], s[4:5], v13, v7, 0
	v_addc_co_u32_e32 v0, vcc, v20, v11, vcc
	v_addc_co_u32_e32 v7, vcc, 0, v9, vcc
	v_add_co_u32_e32 v0, vcc, v0, v8
	v_addc_co_u32_e32 v7, vcc, 0, v7, vcc
	v_mul_lo_u32 v10, s13, v0
	v_mul_lo_u32 v7, s12, v7
	v_mad_u64_u32 v[8:9], s[4:5], s12, v0, 0
	v_add3_u32 v7, v9, v7, v10
	v_sub_u32_e32 v9, v13, v7
	v_mov_b32_e32 v10, s13
	v_sub_co_u32_e32 v8, vcc, v14, v8
	v_subb_co_u32_e64 v9, s[4:5], v9, v10, vcc
	v_subrev_co_u32_e64 v10, s[4:5], s12, v8
	v_subbrev_co_u32_e64 v9, s[4:5], 0, v9, s[4:5]
	v_cmp_le_u32_e64 s[4:5], s13, v9
	v_subb_co_u32_e32 v7, vcc, v13, v7, vcc
	v_cndmask_b32_e64 v11, 0, -1, s[4:5]
	v_cmp_le_u32_e64 s[4:5], s12, v10
	v_cmp_le_u32_e32 vcc, s13, v7
	v_cndmask_b32_e64 v10, 0, -1, s[4:5]
	v_cmp_eq_u32_e64 s[4:5], s13, v9
	v_cndmask_b32_e64 v13, 0, -1, vcc
	v_cmp_le_u32_e32 vcc, s12, v8
	v_cndmask_b32_e64 v9, v11, v10, s[4:5]
	v_cndmask_b32_e64 v8, 0, -1, vcc
	v_cmp_eq_u32_e32 vcc, s13, v7
	v_add_co_u32_e64 v10, s[4:5], 2, v0
	v_add_co_u32_e64 v11, s[4:5], 1, v0
	v_cndmask_b32_e32 v7, v13, v8, vcc
	v_cmp_ne_u32_e32 vcc, 0, v9
	v_cndmask_b32_e32 v8, v11, v10, vcc
	v_cmp_ne_u32_e32 vcc, 0, v7
	v_cndmask_b32_e32 v0, v0, v8, vcc
	v_xor_b32_e32 v7, s10, v12
	v_xor_b32_e32 v0, v0, v7
	v_sub_co_u32_e32 v8, vcc, v0, v7
                                        ; implicit-def: $vgpr10_vgpr11
.LBB3_21:                               ;   in Loop: Header=BB3_15 Depth=1
	s_andn2_saveexec_b64 s[4:5], s[6:7]
	s_cbranch_execz .LBB3_23
; %bb.22:                               ;   in Loop: Header=BB3_15 Depth=1
	s_sub_i32 s6, 0, s33
	v_mul_lo_u32 v0, s6, v18
	v_mul_hi_u32 v0, v18, v0
	v_add_u32_e32 v0, v18, v0
	v_mul_hi_u32 v0, v10, v0
	v_mul_lo_u32 v7, v0, s33
	v_sub_u32_e32 v7, v10, v7
	v_subrev_u32_e32 v8, s33, v7
	v_cmp_le_u32_e32 vcc, s33, v7
	v_cndmask_b32_e32 v7, v7, v8, vcc
	v_add_u32_e32 v8, 1, v0
	v_cndmask_b32_e32 v0, v0, v8, vcc
	v_add_u32_e32 v8, 1, v0
	v_cmp_le_u32_e32 vcc, s33, v7
	v_cndmask_b32_e32 v8, v0, v8, vcc
.LBB3_23:                               ;   in Loop: Header=BB3_15 Depth=1
	s_or_b64 exec, exec, s[4:5]
	v_add_co_u32_e32 v0, vcc, 1, v4
	v_addc_co_u32_e32 v3, vcc, 0, v3, vcc
	v_mul_lo_u32 v7, v0, s40
	v_mul_lo_u32 v3, v3, s41
	v_mad_u64_u32 v[10:11], s[4:5], v0, s41, -1
	v_add3_u32 v11, v3, v11, v7
	v_or_b32_e32 v13, s19, v11
	v_mov_b32_e32 v12, v1
	v_cmp_ne_u64_e32 vcc, 0, v[12:13]
                                        ; implicit-def: $vgpr12_vgpr13
	s_and_saveexec_b64 s[4:5], vcc
	s_xor_b64 s[6:7], exec, s[4:5]
	s_cbranch_execnz .LBB3_26
; %bb.24:                               ;   in Loop: Header=BB3_15 Depth=1
	s_andn2_saveexec_b64 s[4:5], s[6:7]
	s_cbranch_execnz .LBB3_27
.LBB3_25:                               ;   in Loop: Header=BB3_15 Depth=1
	s_or_b64 exec, exec, s[4:5]
	s_and_saveexec_b64 s[10:11], s[0:1]
	s_cbranch_execz .LBB3_14
	s_branch .LBB3_28
.LBB3_26:                               ;   in Loop: Header=BB3_15 Depth=1
	s_add_u32 s4, s33, s19
	s_mov_b32 s10, s19
	s_mov_b32 s11, s19
	s_addc_u32 s5, s19, s19
	s_xor_b64 s[12:13], s[4:5], s[10:11]
	v_cvt_f32_u32_e32 v0, s12
	v_cvt_f32_u32_e32 v3, s13
	s_sub_u32 s4, 0, s12
	s_subb_u32 s5, 0, s13
	v_mac_f32_e32 v0, 0x4f800000, v3
	v_rcp_f32_e32 v0, v0
	v_mul_f32_e32 v0, 0x5f7ffffc, v0
	v_mul_f32_e32 v3, 0x2f800000, v0
	v_trunc_f32_e32 v3, v3
	v_mac_f32_e32 v0, 0xcf800000, v3
	v_cvt_u32_f32_e32 v3, v3
	v_cvt_u32_f32_e32 v0, v0
	v_mul_lo_u32 v7, s4, v3
	v_mul_hi_u32 v12, s4, v0
	v_mul_lo_u32 v9, s5, v0
	v_add_u32_e32 v7, v12, v7
	v_mul_lo_u32 v13, s4, v0
	v_add_u32_e32 v7, v7, v9
	v_mul_lo_u32 v12, v0, v7
	v_mul_hi_u32 v14, v0, v13
	v_mul_hi_u32 v9, v0, v7
	v_add_co_u32_e32 v12, vcc, v14, v12
	v_addc_co_u32_e32 v9, vcc, 0, v9, vcc
	v_mul_hi_u32 v15, v3, v13
	v_mul_lo_u32 v13, v3, v13
	v_add_co_u32_e32 v12, vcc, v12, v13
	v_mul_hi_u32 v14, v3, v7
	v_addc_co_u32_e32 v9, vcc, v9, v15, vcc
	v_addc_co_u32_e32 v12, vcc, 0, v14, vcc
	v_mul_lo_u32 v7, v3, v7
	v_add_co_u32_e32 v7, vcc, v9, v7
	v_addc_co_u32_e32 v9, vcc, 0, v12, vcc
	v_add_co_u32_e32 v0, vcc, v0, v7
	v_addc_co_u32_e32 v3, vcc, v3, v9, vcc
	v_mul_lo_u32 v7, s4, v3
	v_mul_hi_u32 v9, s4, v0
	v_add_u32_e32 v7, v9, v7
	v_mul_lo_u32 v9, s5, v0
	v_add_u32_e32 v7, v7, v9
	v_mul_lo_u32 v12, s4, v0
	v_mul_hi_u32 v13, v3, v12
	v_mul_lo_u32 v14, v3, v12
	v_mul_lo_u32 v20, v0, v7
	v_mul_hi_u32 v12, v0, v12
	v_mul_hi_u32 v15, v0, v7
	v_add_co_u32_e32 v12, vcc, v12, v20
	v_addc_co_u32_e32 v15, vcc, 0, v15, vcc
	v_add_co_u32_e32 v12, vcc, v12, v14
	v_mul_hi_u32 v9, v3, v7
	v_addc_co_u32_e32 v12, vcc, v15, v13, vcc
	v_addc_co_u32_e32 v9, vcc, 0, v9, vcc
	v_mul_lo_u32 v7, v3, v7
	v_add_co_u32_e32 v7, vcc, v12, v7
	v_addc_co_u32_e32 v9, vcc, 0, v9, vcc
	v_add_co_u32_e32 v0, vcc, v0, v7
	v_addc_co_u32_e32 v3, vcc, v3, v9, vcc
	v_ashrrev_i32_e32 v7, 31, v11
	v_add_co_u32_e32 v9, vcc, v10, v7
	v_addc_co_u32_e32 v10, vcc, v11, v7, vcc
	v_xor_b32_e32 v9, v9, v7
	v_xor_b32_e32 v14, v10, v7
	v_mad_u64_u32 v[10:11], s[4:5], v9, v3, 0
	v_mul_hi_u32 v12, v9, v0
	v_add_co_u32_e32 v15, vcc, v12, v10
	v_addc_co_u32_e32 v20, vcc, 0, v11, vcc
	v_mad_u64_u32 v[12:13], s[4:5], v14, v0, 0
	v_add_co_u32_e32 v0, vcc, v15, v12
	v_mad_u64_u32 v[10:11], s[4:5], v14, v3, 0
	v_addc_co_u32_e32 v0, vcc, v20, v13, vcc
	v_addc_co_u32_e32 v3, vcc, 0, v11, vcc
	v_add_co_u32_e32 v0, vcc, v0, v10
	v_addc_co_u32_e32 v3, vcc, 0, v3, vcc
	v_mul_lo_u32 v12, s13, v0
	v_mul_lo_u32 v3, s12, v3
	v_mad_u64_u32 v[10:11], s[4:5], s12, v0, 0
	v_add3_u32 v3, v11, v3, v12
	v_sub_u32_e32 v11, v14, v3
	v_mov_b32_e32 v12, s13
	v_sub_co_u32_e32 v9, vcc, v9, v10
	v_subb_co_u32_e64 v10, s[4:5], v11, v12, vcc
	v_subrev_co_u32_e64 v11, s[4:5], s12, v9
	v_subbrev_co_u32_e64 v10, s[4:5], 0, v10, s[4:5]
	v_cmp_le_u32_e64 s[4:5], s13, v10
	v_subb_co_u32_e32 v3, vcc, v14, v3, vcc
	v_cndmask_b32_e64 v12, 0, -1, s[4:5]
	v_cmp_le_u32_e64 s[4:5], s12, v11
	v_cmp_le_u32_e32 vcc, s13, v3
	v_cndmask_b32_e64 v11, 0, -1, s[4:5]
	v_cmp_eq_u32_e64 s[4:5], s13, v10
	v_cndmask_b32_e64 v13, 0, -1, vcc
	v_cmp_le_u32_e32 vcc, s12, v9
	v_cndmask_b32_e64 v10, v12, v11, s[4:5]
	v_cndmask_b32_e64 v9, 0, -1, vcc
	v_cmp_eq_u32_e32 vcc, s13, v3
	v_add_co_u32_e64 v11, s[4:5], 2, v0
	v_add_co_u32_e64 v12, s[4:5], 1, v0
	v_cndmask_b32_e32 v3, v13, v9, vcc
	v_cmp_ne_u32_e32 vcc, 0, v10
	v_cndmask_b32_e32 v9, v12, v11, vcc
	v_cmp_ne_u32_e32 vcc, 0, v3
	v_cndmask_b32_e32 v0, v0, v9, vcc
	v_xor_b32_e32 v3, s10, v7
	v_xor_b32_e32 v0, v0, v3
	v_sub_co_u32_e32 v12, vcc, v0, v3
                                        ; implicit-def: $vgpr10_vgpr11
	s_andn2_saveexec_b64 s[4:5], s[6:7]
	s_cbranch_execz .LBB3_25
.LBB3_27:                               ;   in Loop: Header=BB3_15 Depth=1
	s_sub_i32 s6, 0, s33
	v_mul_lo_u32 v0, s6, v18
	v_mul_hi_u32 v0, v18, v0
	v_add_u32_e32 v0, v18, v0
	v_mul_hi_u32 v0, v10, v0
	v_mul_lo_u32 v3, v0, s33
	v_sub_u32_e32 v3, v10, v3
	v_subrev_u32_e32 v7, s33, v3
	v_cmp_le_u32_e32 vcc, s33, v3
	v_cndmask_b32_e32 v3, v3, v7, vcc
	v_add_u32_e32 v7, 1, v0
	v_cndmask_b32_e32 v0, v0, v7, vcc
	v_add_u32_e32 v7, 1, v0
	v_cmp_le_u32_e32 vcc, s33, v3
	v_cndmask_b32_e32 v12, v0, v7, vcc
	s_or_b64 exec, exec, s[4:5]
	s_and_saveexec_b64 s[10:11], s[0:1]
	s_cbranch_execz .LBB3_14
.LBB3_28:                               ;   in Loop: Header=BB3_15 Depth=1
	v_mad_u64_u32 v[6:7], s[4:5], v6, s41, v[8:9]
	v_mul_lo_u32 v8, v4, s25
	v_ashrrev_i32_e32 v9, 31, v8
	v_sub_u32_e32 v0, v12, v6
	v_lshlrev_b64 v[8:9], 1, v[8:9]
	v_add_u32_e32 v3, 1, v0
	v_mov_b32_e32 v0, s37
	v_add_co_u32_e32 v7, vcc, s36, v8
	v_addc_co_u32_e32 v20, vcc, v0, v9, vcc
	v_cmp_lt_i32_e64 s[4:5], 0, v3
	v_mul_lo_u32 v21, v3, v5
	s_mov_b64 s[12:13], 0
	v_mov_b32_e32 v0, v16
	s_branch .LBB3_30
.LBB3_29:                               ;   in Loop: Header=BB3_30 Depth=2
	v_mul_lo_u32 v8, v21, v10
	v_cvt_f32_i32_e32 v8, v8
	v_lshlrev_b64 v[10:11], 1, v[0:1]
	v_add_co_u32_e32 v10, vcc, v7, v10
	v_div_scale_f32 v12, s[6:7], v8, v8, v9
	v_rcp_f32_e32 v13, v12
	v_addc_co_u32_e32 v11, vcc, v20, v11, vcc
	v_add_u32_e32 v0, s39, v0
	v_fma_f32 v14, -v12, v13, 1.0
	v_fmac_f32_e32 v13, v14, v13
	v_div_scale_f32 v14, vcc, v9, v8, v9
	v_mul_f32_e32 v15, v14, v13
	v_fma_f32 v22, -v12, v15, v14
	v_fmac_f32_e32 v15, v22, v13
	v_fma_f32 v12, -v12, v15, v14
	v_div_fmas_f32 v12, v12, v13, v15
	v_div_fixup_f32 v8, v12, v8, v9
	v_bfe_u32 v9, v8, 16, 1
	v_add3_u32 v9, v8, v9, s45
	v_lshrrev_b32_e32 v9, 16, v9
	v_cmp_o_f32_e32 vcc, v8, v8
	v_cndmask_b32_e32 v8, v19, v9, vcc
	v_cmp_le_i32_e32 vcc, s25, v0
	s_or_b64 s[12:13], vcc, s[12:13]
	global_store_short v[10:11], v8, off
	s_andn2_b64 exec, exec, s[12:13]
	s_cbranch_execz .LBB3_14
.LBB3_30:                               ;   Parent Loop BB3_15 Depth=1
                                        ; =>  This Loop Header: Depth=2
                                        ;       Child Loop BB3_46 Depth 3
                                        ;         Child Loop BB3_49 Depth 4
                                        ;           Child Loop BB3_51 Depth 5
	v_or_b32_e64 v9, 0, s34
	v_mov_b32_e32 v8, v1
	v_cmp_ne_u64_e32 vcc, 0, v[8:9]
                                        ; implicit-def: $vgpr8_vgpr9
	s_and_saveexec_b64 s[6:7], vcc
	s_xor_b64 s[16:17], exec, s[6:7]
	s_cbranch_execz .LBB3_32
; %bb.31:                               ;   in Loop: Header=BB3_30 Depth=2
	s_add_u32 s6, s35, s34
	s_mov_b32 s26, s34
	s_mov_b32 s27, s34
	s_addc_u32 s7, s34, s34
	s_xor_b64 s[28:29], s[6:7], s[26:27]
	v_cvt_f32_u32_e32 v8, s28
	v_cvt_f32_u32_e32 v9, s29
	s_sub_u32 s6, 0, s28
	s_subb_u32 s7, 0, s29
	v_mac_f32_e32 v8, 0x4f800000, v9
	v_rcp_f32_e32 v8, v8
	v_mul_f32_e32 v8, 0x5f7ffffc, v8
	v_mul_f32_e32 v9, 0x2f800000, v8
	v_trunc_f32_e32 v9, v9
	v_mac_f32_e32 v8, 0xcf800000, v9
	v_cvt_u32_f32_e32 v9, v9
	v_cvt_u32_f32_e32 v8, v8
	v_mul_lo_u32 v10, s6, v9
	v_mul_hi_u32 v12, s6, v8
	v_mul_lo_u32 v11, s7, v8
	v_add_u32_e32 v10, v12, v10
	v_mul_lo_u32 v13, s6, v8
	v_add_u32_e32 v10, v10, v11
	v_mul_lo_u32 v12, v8, v10
	v_mul_hi_u32 v14, v8, v13
	v_mul_hi_u32 v11, v8, v10
	v_add_co_u32_e32 v12, vcc, v14, v12
	v_addc_co_u32_e32 v11, vcc, 0, v11, vcc
	v_mul_hi_u32 v15, v9, v13
	v_mul_lo_u32 v13, v9, v13
	v_add_co_u32_e32 v12, vcc, v12, v13
	v_mul_hi_u32 v14, v9, v10
	v_addc_co_u32_e32 v11, vcc, v11, v15, vcc
	v_addc_co_u32_e32 v12, vcc, 0, v14, vcc
	v_mul_lo_u32 v10, v9, v10
	v_add_co_u32_e32 v10, vcc, v11, v10
	v_addc_co_u32_e32 v11, vcc, 0, v12, vcc
	v_add_co_u32_e32 v8, vcc, v8, v10
	v_addc_co_u32_e32 v9, vcc, v9, v11, vcc
	v_mul_lo_u32 v10, s6, v9
	v_mul_hi_u32 v11, s6, v8
	v_add_u32_e32 v10, v11, v10
	v_mul_lo_u32 v11, s7, v8
	v_add_u32_e32 v10, v10, v11
	v_mul_lo_u32 v12, s6, v8
	v_mul_hi_u32 v13, v9, v12
	v_mul_lo_u32 v14, v9, v12
	v_mul_lo_u32 v22, v8, v10
	v_mul_hi_u32 v12, v8, v12
	v_mul_hi_u32 v15, v8, v10
	v_add_co_u32_e32 v12, vcc, v12, v22
	v_addc_co_u32_e32 v15, vcc, 0, v15, vcc
	v_add_co_u32_e32 v12, vcc, v12, v14
	v_mul_hi_u32 v11, v9, v10
	v_addc_co_u32_e32 v12, vcc, v15, v13, vcc
	v_addc_co_u32_e32 v11, vcc, 0, v11, vcc
	v_mul_lo_u32 v10, v9, v10
	v_add_co_u32_e32 v10, vcc, v12, v10
	v_addc_co_u32_e32 v11, vcc, 0, v11, vcc
	v_add_co_u32_e32 v10, vcc, v8, v10
	v_addc_co_u32_e32 v11, vcc, v9, v11, vcc
	v_ashrrev_i32_e64 v12, 31, 0
	v_add_co_u32_e32 v8, vcc, v0, v12
	v_addc_co_u32_e32 v9, vcc, 0, v12, vcc
	v_xor_b32_e32 v14, v8, v12
	v_xor_b32_e32 v13, v9, v12
	v_mad_u64_u32 v[8:9], s[6:7], v14, v11, 0
	v_mul_hi_u32 v15, v14, v10
	v_add_co_u32_e32 v15, vcc, v15, v8
	v_addc_co_u32_e32 v22, vcc, 0, v9, vcc
	v_mad_u64_u32 v[8:9], s[6:7], v13, v11, 0
	v_mad_u64_u32 v[10:11], s[6:7], v13, v10, 0
	v_add_co_u32_e32 v10, vcc, v15, v10
	v_addc_co_u32_e32 v10, vcc, v22, v11, vcc
	v_addc_co_u32_e32 v9, vcc, 0, v9, vcc
	v_add_co_u32_e32 v10, vcc, v10, v8
	v_addc_co_u32_e32 v11, vcc, 0, v9, vcc
	v_mul_lo_u32 v15, s29, v10
	v_mul_lo_u32 v22, s28, v11
	v_mad_u64_u32 v[8:9], s[6:7], s28, v10, 0
	v_add3_u32 v9, v9, v22, v15
	v_sub_u32_e32 v15, v13, v9
	v_mov_b32_e32 v22, s29
	v_sub_co_u32_e32 v8, vcc, v14, v8
	v_subb_co_u32_e64 v14, s[6:7], v15, v22, vcc
	v_subrev_co_u32_e64 v15, s[6:7], s28, v8
	v_subbrev_co_u32_e64 v14, s[6:7], 0, v14, s[6:7]
	v_cmp_le_u32_e64 s[6:7], s29, v14
	v_cndmask_b32_e64 v22, 0, -1, s[6:7]
	v_cmp_le_u32_e64 s[6:7], s28, v15
	v_cndmask_b32_e64 v15, 0, -1, s[6:7]
	v_cmp_eq_u32_e64 s[6:7], s29, v14
	v_cndmask_b32_e64 v14, v22, v15, s[6:7]
	v_add_co_u32_e64 v15, s[6:7], 2, v10
	v_subb_co_u32_e32 v9, vcc, v13, v9, vcc
	v_addc_co_u32_e64 v22, s[6:7], 0, v11, s[6:7]
	v_cmp_le_u32_e32 vcc, s29, v9
	v_add_co_u32_e64 v23, s[6:7], 1, v10
	v_cndmask_b32_e64 v13, 0, -1, vcc
	v_cmp_le_u32_e32 vcc, s28, v8
	v_addc_co_u32_e64 v24, s[6:7], 0, v11, s[6:7]
	v_cndmask_b32_e64 v8, 0, -1, vcc
	v_cmp_eq_u32_e32 vcc, s29, v9
	v_cmp_ne_u32_e64 s[6:7], 0, v14
	v_cndmask_b32_e32 v8, v13, v8, vcc
	v_cndmask_b32_e64 v14, v24, v22, s[6:7]
	v_cmp_ne_u32_e32 vcc, 0, v8
	v_cndmask_b32_e64 v9, v23, v15, s[6:7]
	v_cndmask_b32_e32 v8, v11, v14, vcc
	v_cndmask_b32_e32 v9, v10, v9, vcc
	v_xor_b32_e32 v10, s27, v12
	v_xor_b32_e32 v11, s26, v12
	;; [unrolled: 1-line block ×4, first 2 shown]
	v_sub_co_u32_e32 v8, vcc, v8, v11
	v_subb_co_u32_e32 v9, vcc, v12, v10, vcc
.LBB3_32:                               ;   in Loop: Header=BB3_30 Depth=2
	s_or_saveexec_b64 s[6:7], s[16:17]
	v_cvt_f32_u32_e32 v22, s35
	s_xor_b64 exec, exec, s[6:7]
	s_cbranch_execz .LBB3_34
; %bb.33:                               ;   in Loop: Header=BB3_30 Depth=2
	v_rcp_iflag_f32_e32 v8, v22
	s_sub_i32 s16, 0, s35
	v_mul_f32_e32 v8, 0x4f7ffffe, v8
	v_cvt_u32_f32_e32 v8, v8
	v_mul_lo_u32 v9, s16, v8
	v_mul_hi_u32 v9, v8, v9
	v_add_u32_e32 v8, v8, v9
	v_mul_hi_u32 v8, v0, v8
	v_mul_lo_u32 v9, v8, s35
	v_sub_u32_e32 v9, v0, v9
	v_add_u32_e32 v10, 1, v8
	v_subrev_u32_e32 v11, s35, v9
	v_cmp_le_u32_e32 vcc, s35, v9
	v_cndmask_b32_e32 v9, v9, v11, vcc
	v_cndmask_b32_e32 v8, v8, v10, vcc
	v_add_u32_e32 v10, 1, v8
	v_cmp_le_u32_e32 vcc, s35, v9
	v_cndmask_b32_e32 v8, v8, v10, vcc
	v_mov_b32_e32 v9, v1
.LBB3_34:                               ;   in Loop: Header=BB3_30 Depth=2
	s_or_b64 exec, exec, s[6:7]
	v_mul_lo_u32 v9, v9, s35
	v_mul_lo_u32 v12, v8, s34
	v_mad_u64_u32 v[10:11], s[6:7], v8, s35, 0
	v_add3_u32 v9, v11, v12, v9
	v_sub_co_u32_e32 v10, vcc, v0, v10
	v_subb_co_u32_e32 v9, vcc, 0, v9, vcc
	v_mul_lo_u32 v9, v9, s18
	v_mul_lo_u32 v11, v10, s42
	v_mad_u64_u32 v[12:13], s[6:7], v10, s18, 0
	v_add3_u32 v13, v13, v11, v9
	v_or_b32_e32 v11, s34, v13
	v_mov_b32_e32 v10, v1
	v_cmp_ne_u64_e32 vcc, 0, v[10:11]
                                        ; implicit-def: $vgpr10_vgpr11
	s_and_saveexec_b64 s[6:7], vcc
	s_xor_b64 s[16:17], exec, s[6:7]
	s_cbranch_execz .LBB3_36
; %bb.35:                               ;   in Loop: Header=BB3_30 Depth=2
	s_add_u32 s6, s35, s34
	s_mov_b32 s26, s34
	s_mov_b32 s27, s34
	s_addc_u32 s7, s34, s34
	s_xor_b64 s[28:29], s[6:7], s[26:27]
	v_cvt_f32_u32_e32 v9, s28
	v_cvt_f32_u32_e32 v10, s29
	s_sub_u32 s6, 0, s28
	s_subb_u32 s7, 0, s29
	v_mac_f32_e32 v9, 0x4f800000, v10
	v_rcp_f32_e32 v9, v9
	v_mul_f32_e32 v9, 0x5f7ffffc, v9
	v_mul_f32_e32 v10, 0x2f800000, v9
	v_trunc_f32_e32 v10, v10
	v_mac_f32_e32 v9, 0xcf800000, v10
	v_cvt_u32_f32_e32 v10, v10
	v_cvt_u32_f32_e32 v9, v9
	v_mul_lo_u32 v11, s6, v10
	v_mul_hi_u32 v15, s6, v9
	v_mul_lo_u32 v14, s7, v9
	v_add_u32_e32 v11, v15, v11
	v_mul_lo_u32 v23, s6, v9
	v_add_u32_e32 v11, v11, v14
	v_mul_lo_u32 v15, v9, v11
	v_mul_hi_u32 v24, v9, v23
	v_mul_hi_u32 v14, v9, v11
	v_add_co_u32_e32 v15, vcc, v24, v15
	v_addc_co_u32_e32 v14, vcc, 0, v14, vcc
	v_mul_hi_u32 v25, v10, v23
	v_mul_lo_u32 v23, v10, v23
	v_add_co_u32_e32 v15, vcc, v15, v23
	v_mul_hi_u32 v24, v10, v11
	v_addc_co_u32_e32 v14, vcc, v14, v25, vcc
	v_addc_co_u32_e32 v15, vcc, 0, v24, vcc
	v_mul_lo_u32 v11, v10, v11
	v_add_co_u32_e32 v11, vcc, v14, v11
	v_addc_co_u32_e32 v14, vcc, 0, v15, vcc
	v_add_co_u32_e32 v9, vcc, v9, v11
	v_addc_co_u32_e32 v10, vcc, v10, v14, vcc
	v_mul_lo_u32 v11, s6, v10
	v_mul_hi_u32 v14, s6, v9
	v_add_u32_e32 v11, v14, v11
	v_mul_lo_u32 v14, s7, v9
	v_add_u32_e32 v11, v11, v14
	v_mul_lo_u32 v15, s6, v9
	v_mul_hi_u32 v23, v10, v15
	v_mul_lo_u32 v24, v10, v15
	v_mul_lo_u32 v26, v9, v11
	v_mul_hi_u32 v15, v9, v15
	v_mul_hi_u32 v25, v9, v11
	v_add_co_u32_e32 v15, vcc, v15, v26
	v_addc_co_u32_e32 v25, vcc, 0, v25, vcc
	v_add_co_u32_e32 v15, vcc, v15, v24
	v_mul_hi_u32 v14, v10, v11
	v_addc_co_u32_e32 v15, vcc, v25, v23, vcc
	v_addc_co_u32_e32 v14, vcc, 0, v14, vcc
	v_mul_lo_u32 v11, v10, v11
	v_add_co_u32_e32 v11, vcc, v15, v11
	v_addc_co_u32_e32 v14, vcc, 0, v14, vcc
	v_add_co_u32_e32 v9, vcc, v9, v11
	v_addc_co_u32_e32 v14, vcc, v10, v14, vcc
	v_ashrrev_i32_e32 v15, 31, v13
	v_add_co_u32_e32 v10, vcc, v12, v15
	v_addc_co_u32_e32 v11, vcc, v13, v15, vcc
	v_xor_b32_e32 v24, v10, v15
	v_xor_b32_e32 v23, v11, v15
	v_mad_u64_u32 v[10:11], s[6:7], v24, v14, 0
	v_mul_hi_u32 v12, v24, v9
	v_add_co_u32_e32 v25, vcc, v12, v10
	v_addc_co_u32_e32 v26, vcc, 0, v11, vcc
	v_mad_u64_u32 v[12:13], s[6:7], v23, v9, 0
	v_add_co_u32_e32 v9, vcc, v25, v12
	v_mad_u64_u32 v[10:11], s[6:7], v23, v14, 0
	v_addc_co_u32_e32 v9, vcc, v26, v13, vcc
	v_addc_co_u32_e32 v11, vcc, 0, v11, vcc
	v_add_co_u32_e32 v9, vcc, v9, v10
	v_addc_co_u32_e32 v10, vcc, 0, v11, vcc
	v_mul_lo_u32 v12, s29, v9
	v_mul_lo_u32 v13, s28, v10
	v_mad_u64_u32 v[10:11], s[6:7], s28, v9, 0
	v_add3_u32 v11, v11, v13, v12
	v_sub_u32_e32 v12, v23, v11
	v_mov_b32_e32 v13, s29
	v_sub_co_u32_e32 v10, vcc, v24, v10
	v_subb_co_u32_e64 v12, s[6:7], v12, v13, vcc
	v_subrev_co_u32_e64 v13, s[6:7], s28, v10
	v_subbrev_co_u32_e64 v12, s[6:7], 0, v12, s[6:7]
	v_cmp_le_u32_e64 s[6:7], s29, v12
	v_subb_co_u32_e32 v11, vcc, v23, v11, vcc
	v_cndmask_b32_e64 v14, 0, -1, s[6:7]
	v_cmp_le_u32_e64 s[6:7], s28, v13
	v_cmp_le_u32_e32 vcc, s29, v11
	v_cndmask_b32_e64 v13, 0, -1, s[6:7]
	v_cmp_eq_u32_e64 s[6:7], s29, v12
	v_cndmask_b32_e64 v23, 0, -1, vcc
	v_cmp_le_u32_e32 vcc, s28, v10
	v_cndmask_b32_e64 v12, v14, v13, s[6:7]
	v_cndmask_b32_e64 v10, 0, -1, vcc
	v_cmp_eq_u32_e32 vcc, s29, v11
	v_add_co_u32_e64 v13, s[6:7], 2, v9
	v_add_co_u32_e64 v14, s[6:7], 1, v9
	v_cndmask_b32_e32 v10, v23, v10, vcc
	v_cmp_ne_u32_e32 vcc, 0, v12
	v_cndmask_b32_e32 v11, v14, v13, vcc
	v_cmp_ne_u32_e32 vcc, 0, v10
	v_cndmask_b32_e32 v9, v9, v11, vcc
	v_xor_b32_e32 v10, s26, v15
	v_xor_b32_e32 v9, v9, v10
	v_sub_co_u32_e32 v10, vcc, v9, v10
                                        ; implicit-def: $vgpr12_vgpr13
.LBB3_36:                               ;   in Loop: Header=BB3_30 Depth=2
	s_andn2_saveexec_b64 s[6:7], s[16:17]
	s_cbranch_execz .LBB3_38
; %bb.37:                               ;   in Loop: Header=BB3_30 Depth=2
	v_rcp_iflag_f32_e32 v9, v22
	s_sub_i32 s16, 0, s35
	v_mul_f32_e32 v9, 0x4f7ffffe, v9
	v_cvt_u32_f32_e32 v9, v9
	v_mul_lo_u32 v10, s16, v9
	v_mul_hi_u32 v10, v9, v10
	v_add_u32_e32 v9, v9, v10
	v_mul_hi_u32 v9, v12, v9
	v_mul_lo_u32 v10, v9, s35
	v_sub_u32_e32 v10, v12, v10
	v_add_u32_e32 v11, 1, v9
	v_subrev_u32_e32 v12, s35, v10
	v_cmp_le_u32_e32 vcc, s35, v10
	v_cndmask_b32_e32 v10, v10, v12, vcc
	v_cndmask_b32_e32 v9, v9, v11, vcc
	v_add_u32_e32 v11, 1, v9
	v_cmp_le_u32_e32 vcc, s35, v10
	v_cndmask_b32_e32 v10, v9, v11, vcc
.LBB3_38:                               ;   in Loop: Header=BB3_30 Depth=2
	s_or_b64 exec, exec, s[6:7]
	v_add_co_u32_e32 v9, vcc, 1, v0
	v_addc_co_u32_e64 v11, s[6:7], 0, 0, vcc
	v_mul_lo_u32 v14, v9, s42
	v_mul_lo_u32 v11, v11, s18
	v_mad_u64_u32 v[12:13], s[6:7], v9, s18, -1
	v_add3_u32 v13, v11, v13, v14
	v_or_b32_e32 v15, s34, v13
	v_mov_b32_e32 v14, v1
	v_cmp_ne_u64_e32 vcc, 0, v[14:15]
                                        ; implicit-def: $vgpr14_vgpr15
	s_and_saveexec_b64 s[6:7], vcc
	s_xor_b64 s[16:17], exec, s[6:7]
	s_cbranch_execz .LBB3_40
; %bb.39:                               ;   in Loop: Header=BB3_30 Depth=2
	s_add_u32 s6, s35, s34
	s_mov_b32 s26, s34
	s_mov_b32 s27, s34
	s_addc_u32 s7, s34, s34
	s_xor_b64 s[28:29], s[6:7], s[26:27]
	v_cvt_f32_u32_e32 v9, s28
	v_cvt_f32_u32_e32 v11, s29
	s_sub_u32 s6, 0, s28
	s_subb_u32 s7, 0, s29
	v_mac_f32_e32 v9, 0x4f800000, v11
	v_rcp_f32_e32 v9, v9
	v_mul_f32_e32 v9, 0x5f7ffffc, v9
	v_mul_f32_e32 v11, 0x2f800000, v9
	v_trunc_f32_e32 v11, v11
	v_mac_f32_e32 v9, 0xcf800000, v11
	v_cvt_u32_f32_e32 v11, v11
	v_cvt_u32_f32_e32 v9, v9
	v_mul_lo_u32 v14, s6, v11
	v_mul_hi_u32 v22, s6, v9
	v_mul_lo_u32 v15, s7, v9
	v_add_u32_e32 v14, v22, v14
	v_mul_lo_u32 v23, s6, v9
	v_add_u32_e32 v14, v14, v15
	v_mul_lo_u32 v22, v9, v14
	v_mul_hi_u32 v24, v9, v23
	v_mul_hi_u32 v15, v9, v14
	v_add_co_u32_e32 v22, vcc, v24, v22
	v_addc_co_u32_e32 v15, vcc, 0, v15, vcc
	v_mul_hi_u32 v25, v11, v23
	v_mul_lo_u32 v23, v11, v23
	v_add_co_u32_e32 v22, vcc, v22, v23
	v_mul_hi_u32 v24, v11, v14
	v_addc_co_u32_e32 v15, vcc, v15, v25, vcc
	v_addc_co_u32_e32 v22, vcc, 0, v24, vcc
	v_mul_lo_u32 v14, v11, v14
	v_add_co_u32_e32 v14, vcc, v15, v14
	v_addc_co_u32_e32 v15, vcc, 0, v22, vcc
	v_add_co_u32_e32 v9, vcc, v9, v14
	v_addc_co_u32_e32 v11, vcc, v11, v15, vcc
	v_mul_lo_u32 v14, s6, v11
	v_mul_hi_u32 v15, s6, v9
	v_add_u32_e32 v14, v15, v14
	v_mul_lo_u32 v15, s7, v9
	v_add_u32_e32 v14, v14, v15
	v_mul_lo_u32 v22, s6, v9
	v_mul_hi_u32 v23, v11, v22
	v_mul_lo_u32 v24, v11, v22
	v_mul_lo_u32 v26, v9, v14
	v_mul_hi_u32 v22, v9, v22
	v_mul_hi_u32 v25, v9, v14
	v_add_co_u32_e32 v22, vcc, v22, v26
	v_addc_co_u32_e32 v25, vcc, 0, v25, vcc
	v_add_co_u32_e32 v22, vcc, v22, v24
	v_mul_hi_u32 v15, v11, v14
	v_addc_co_u32_e32 v22, vcc, v25, v23, vcc
	v_addc_co_u32_e32 v15, vcc, 0, v15, vcc
	v_mul_lo_u32 v14, v11, v14
	v_add_co_u32_e32 v14, vcc, v22, v14
	v_addc_co_u32_e32 v15, vcc, 0, v15, vcc
	v_add_co_u32_e32 v9, vcc, v9, v14
	v_addc_co_u32_e32 v11, vcc, v11, v15, vcc
	v_ashrrev_i32_e32 v22, 31, v13
	v_add_co_u32_e32 v12, vcc, v12, v22
	v_addc_co_u32_e32 v13, vcc, v13, v22, vcc
	v_xor_b32_e32 v24, v12, v22
	v_xor_b32_e32 v23, v13, v22
	v_mad_u64_u32 v[12:13], s[6:7], v24, v11, 0
	v_mul_hi_u32 v14, v24, v9
	v_add_co_u32_e32 v25, vcc, v14, v12
	v_addc_co_u32_e32 v26, vcc, 0, v13, vcc
	v_mad_u64_u32 v[14:15], s[6:7], v23, v9, 0
	v_add_co_u32_e32 v9, vcc, v25, v14
	v_mad_u64_u32 v[12:13], s[6:7], v23, v11, 0
	v_addc_co_u32_e32 v9, vcc, v26, v15, vcc
	v_addc_co_u32_e32 v11, vcc, 0, v13, vcc
	v_add_co_u32_e32 v9, vcc, v9, v12
	v_addc_co_u32_e32 v11, vcc, 0, v11, vcc
	v_mul_lo_u32 v14, s29, v9
	v_mul_lo_u32 v11, s28, v11
	v_mad_u64_u32 v[12:13], s[6:7], s28, v9, 0
	v_add3_u32 v11, v13, v11, v14
	v_sub_u32_e32 v13, v23, v11
	v_mov_b32_e32 v14, s29
	v_sub_co_u32_e32 v12, vcc, v24, v12
	v_subb_co_u32_e64 v13, s[6:7], v13, v14, vcc
	v_subrev_co_u32_e64 v14, s[6:7], s28, v12
	v_subbrev_co_u32_e64 v13, s[6:7], 0, v13, s[6:7]
	v_cmp_le_u32_e64 s[6:7], s29, v13
	v_subb_co_u32_e32 v11, vcc, v23, v11, vcc
	v_cndmask_b32_e64 v15, 0, -1, s[6:7]
	v_cmp_le_u32_e64 s[6:7], s28, v14
	v_cmp_le_u32_e32 vcc, s29, v11
	v_cndmask_b32_e64 v14, 0, -1, s[6:7]
	v_cmp_eq_u32_e64 s[6:7], s29, v13
	v_cndmask_b32_e64 v23, 0, -1, vcc
	v_cmp_le_u32_e32 vcc, s28, v12
	v_cndmask_b32_e64 v13, v15, v14, s[6:7]
	v_cndmask_b32_e64 v12, 0, -1, vcc
	v_cmp_eq_u32_e32 vcc, s29, v11
	v_add_co_u32_e64 v14, s[6:7], 2, v9
	v_add_co_u32_e64 v15, s[6:7], 1, v9
	v_cndmask_b32_e32 v11, v23, v12, vcc
	v_cmp_ne_u32_e32 vcc, 0, v13
	v_cndmask_b32_e32 v12, v15, v14, vcc
	v_cmp_ne_u32_e32 vcc, 0, v11
	v_cndmask_b32_e32 v9, v9, v12, vcc
	v_xor_b32_e32 v11, s26, v22
	v_xor_b32_e32 v9, v9, v11
	v_sub_co_u32_e32 v14, vcc, v9, v11
                                        ; implicit-def: $vgpr22
                                        ; implicit-def: $vgpr12_vgpr13
.LBB3_40:                               ;   in Loop: Header=BB3_30 Depth=2
	s_andn2_saveexec_b64 s[6:7], s[16:17]
	s_cbranch_execz .LBB3_42
; %bb.41:                               ;   in Loop: Header=BB3_30 Depth=2
	v_rcp_iflag_f32_e32 v9, v22
	s_sub_i32 s16, 0, s35
	v_mul_f32_e32 v9, 0x4f7ffffe, v9
	v_cvt_u32_f32_e32 v9, v9
	v_mul_lo_u32 v11, s16, v9
	v_mul_hi_u32 v11, v9, v11
	v_add_u32_e32 v9, v9, v11
	v_mul_hi_u32 v9, v12, v9
	v_mul_lo_u32 v11, v9, s35
	v_sub_u32_e32 v11, v12, v11
	v_add_u32_e32 v13, 1, v9
	v_subrev_u32_e32 v12, s35, v11
	v_cmp_le_u32_e32 vcc, s35, v11
	v_cndmask_b32_e32 v11, v11, v12, vcc
	v_cndmask_b32_e32 v9, v9, v13, vcc
	v_add_u32_e32 v12, 1, v9
	v_cmp_le_u32_e32 vcc, s35, v11
	v_cndmask_b32_e32 v14, v9, v12, vcc
.LBB3_42:                               ;   in Loop: Header=BB3_30 Depth=2
	s_or_b64 exec, exec, s[6:7]
	v_mad_u64_u32 v[8:9], s[6:7], v8, s18, v[10:11]
	v_sub_u32_e32 v9, v14, v8
	v_add_u32_e32 v10, 1, v9
	s_andn2_b64 vcc, exec, s[2:3]
	v_mov_b32_e32 v9, 0
	s_cbranch_vccnz .LBB3_29
; %bb.43:                               ;   in Loop: Header=BB3_30 Depth=2
	s_mov_b32 s46, 0
	v_cmp_lt_i32_e64 s[6:7], 0, v10
	v_mov_b32_e32 v9, 0
	s_branch .LBB3_46
.LBB3_44:                               ;   in Loop: Header=BB3_46 Depth=3
	s_or_b64 exec, exec, s[26:27]
.LBB3_45:                               ;   in Loop: Header=BB3_46 Depth=3
	s_or_b64 exec, exec, s[16:17]
	s_add_i32 s46, s46, 1
	v_cmp_ne_u32_e32 vcc, s46, v17
	s_cbranch_vccz .LBB3_29
.LBB3_46:                               ;   Parent Loop BB3_15 Depth=1
                                        ;     Parent Loop BB3_30 Depth=2
                                        ; =>    This Loop Header: Depth=3
                                        ;         Child Loop BB3_49 Depth 4
                                        ;           Child Loop BB3_51 Depth 5
	s_and_saveexec_b64 s[16:17], s[4:5]
	s_cbranch_execz .LBB3_45
; %bb.47:                               ;   in Loop: Header=BB3_46 Depth=3
	v_add_u32_e32 v11, s46, v2
	v_ashrrev_i32_e32 v12, 31, v11
	v_mul_lo_u32 v13, v11, s15
	v_mul_hi_u32 v14, v11, s14
	v_add_u32_e32 v13, v14, v13
	v_mul_lo_u32 v12, v12, s14
	v_add_u32_e32 v13, v13, v12
	v_mul_lo_u32 v12, v11, s14
	v_lshlrev_b64 v[12:13], 1, v[12:13]
	v_mov_b32_e32 v14, s44
	v_add_co_u32_e32 v11, vcc, s43, v12
	v_addc_co_u32_e32 v12, vcc, v14, v13, vcc
	s_mov_b32 s47, 0
	s_mov_b64 s[26:27], 0
	s_branch .LBB3_49
.LBB3_48:                               ;   in Loop: Header=BB3_49 Depth=4
	s_or_b64 exec, exec, s[28:29]
	s_add_i32 s47, s47, 1
	v_cmp_ge_i32_e32 vcc, s47, v3
	s_or_b64 s[26:27], vcc, s[26:27]
	s_andn2_b64 exec, exec, s[26:27]
	s_cbranch_execz .LBB3_44
.LBB3_49:                               ;   Parent Loop BB3_15 Depth=1
                                        ;     Parent Loop BB3_30 Depth=2
                                        ;       Parent Loop BB3_46 Depth=3
                                        ; =>      This Loop Header: Depth=4
                                        ;           Child Loop BB3_51 Depth 5
	s_and_saveexec_b64 s[28:29], s[6:7]
	s_cbranch_execz .LBB3_48
; %bb.50:                               ;   in Loop: Header=BB3_49 Depth=4
	v_add_u32_e32 v13, s47, v6
	v_ashrrev_i32_e32 v14, 31, v13
	v_mul_lo_u32 v22, v14, s20
	v_mul_lo_u32 v23, v13, s21
	v_mad_u64_u32 v[14:15], s[30:31], v13, s20, 0
	v_add3_u32 v15, v15, v23, v22
	v_lshlrev_b64 v[14:15], 1, v[14:15]
	v_add_co_u32_e32 v13, vcc, v11, v14
	v_addc_co_u32_e32 v14, vcc, v12, v15, vcc
	s_mov_b32 s48, 0
	s_mov_b64 s[30:31], 0
.LBB3_51:                               ;   Parent Loop BB3_15 Depth=1
                                        ;     Parent Loop BB3_30 Depth=2
                                        ;       Parent Loop BB3_46 Depth=3
                                        ;         Parent Loop BB3_49 Depth=4
                                        ; =>        This Inner Loop Header: Depth=5
	v_add_u32_e32 v15, s48, v8
	v_ashrrev_i32_e32 v24, 31, v15
	v_mul_lo_u32 v25, v15, s23
	v_mad_u64_u32 v[22:23], s[50:51], v15, s22, 0
	v_mul_lo_u32 v15, v24, s22
	v_add3_u32 v23, v23, v25, v15
	v_lshlrev_b64 v[22:23], 1, v[22:23]
	v_add_co_u32_e32 v22, vcc, v13, v22
	v_addc_co_u32_e32 v23, vcc, v14, v23, vcc
	global_load_ushort v15, v[22:23], off
	s_add_i32 s48, s48, 1
	v_cmp_ge_i32_e32 vcc, s48, v10
	s_or_b64 s[30:31], vcc, s[30:31]
	s_waitcnt vmcnt(0)
	v_lshlrev_b32_e32 v15, 16, v15
	v_add_f32_e32 v9, v9, v15
	s_andn2_b64 exec, exec, s[30:31]
	s_cbranch_execnz .LBB3_51
; %bb.52:                               ;   in Loop: Header=BB3_49 Depth=4
	s_or_b64 exec, exec, s[30:31]
	s_branch .LBB3_48
.LBB3_53:
	s_endpgm
.LBB3_54:
                                        ; implicit-def: $sgpr26_sgpr27
	v_cvt_f32_u32_e32 v1, s8
	s_branch .LBB3_2
.LBB3_55:
                                        ; implicit-def: $vgpr2_vgpr3
	s_branch .LBB3_5
.LBB3_56:
                                        ; implicit-def: $vgpr6_vgpr7
	s_load_dword s16, s[4:5], 0x6c
	s_andn2_b64 vcc, exec, s[12:13]
	s_cbranch_vccz .LBB3_8
	s_branch .LBB3_9
.LBB3_57:
                                        ; implicit-def: $sgpr30_sgpr31
	s_load_dword s0, s[4:5], 0x64
	s_branch .LBB3_12
	.section	.rodata,"a",@progbits
	.p2align	6, 0x0
	.amdhsa_kernel _ZN2at6native12_GLOBAL__N_119adaptiveaveragepoolIN3c108BFloat16EfEEvPKT_PS5_iiiiiilllllll
		.amdhsa_group_segment_fixed_size 0
		.amdhsa_private_segment_fixed_size 0
		.amdhsa_kernarg_size 352
		.amdhsa_user_sgpr_count 6
		.amdhsa_user_sgpr_private_segment_buffer 1
		.amdhsa_user_sgpr_dispatch_ptr 0
		.amdhsa_user_sgpr_queue_ptr 0
		.amdhsa_user_sgpr_kernarg_segment_ptr 1
		.amdhsa_user_sgpr_dispatch_id 0
		.amdhsa_user_sgpr_flat_scratch_init 0
		.amdhsa_user_sgpr_kernarg_preload_length 0
		.amdhsa_user_sgpr_kernarg_preload_offset 0
		.amdhsa_user_sgpr_private_segment_size 0
		.amdhsa_uses_dynamic_stack 0
		.amdhsa_system_sgpr_private_segment_wavefront_offset 0
		.amdhsa_system_sgpr_workgroup_id_x 1
		.amdhsa_system_sgpr_workgroup_id_y 1
		.amdhsa_system_sgpr_workgroup_id_z 0
		.amdhsa_system_sgpr_workgroup_info 0
		.amdhsa_system_vgpr_workitem_id 1
		.amdhsa_next_free_vgpr 27
		.amdhsa_next_free_sgpr 52
		.amdhsa_accum_offset 28
		.amdhsa_reserve_vcc 1
		.amdhsa_reserve_flat_scratch 0
		.amdhsa_float_round_mode_32 0
		.amdhsa_float_round_mode_16_64 0
		.amdhsa_float_denorm_mode_32 3
		.amdhsa_float_denorm_mode_16_64 3
		.amdhsa_dx10_clamp 1
		.amdhsa_ieee_mode 1
		.amdhsa_fp16_overflow 0
		.amdhsa_tg_split 0
		.amdhsa_exception_fp_ieee_invalid_op 0
		.amdhsa_exception_fp_denorm_src 0
		.amdhsa_exception_fp_ieee_div_zero 0
		.amdhsa_exception_fp_ieee_overflow 0
		.amdhsa_exception_fp_ieee_underflow 0
		.amdhsa_exception_fp_ieee_inexact 0
		.amdhsa_exception_int_div_zero 0
	.end_amdhsa_kernel
	.section	.text._ZN2at6native12_GLOBAL__N_119adaptiveaveragepoolIN3c108BFloat16EfEEvPKT_PS5_iiiiiilllllll,"axG",@progbits,_ZN2at6native12_GLOBAL__N_119adaptiveaveragepoolIN3c108BFloat16EfEEvPKT_PS5_iiiiiilllllll,comdat
.Lfunc_end3:
	.size	_ZN2at6native12_GLOBAL__N_119adaptiveaveragepoolIN3c108BFloat16EfEEvPKT_PS5_iiiiiilllllll, .Lfunc_end3-_ZN2at6native12_GLOBAL__N_119adaptiveaveragepoolIN3c108BFloat16EfEEvPKT_PS5_iiiiiilllllll
                                        ; -- End function
	.section	.AMDGPU.csdata,"",@progbits
; Kernel info:
; codeLenInByte = 8160
; NumSgprs: 56
; NumVgprs: 27
; NumAgprs: 0
; TotalNumVgprs: 27
; ScratchSize: 0
; MemoryBound: 0
; FloatMode: 240
; IeeeMode: 1
; LDSByteSize: 0 bytes/workgroup (compile time only)
; SGPRBlocks: 6
; VGPRBlocks: 3
; NumSGPRsForWavesPerEU: 56
; NumVGPRsForWavesPerEU: 27
; AccumOffset: 28
; Occupancy: 8
; WaveLimiterHint : 0
; COMPUTE_PGM_RSRC2:SCRATCH_EN: 0
; COMPUTE_PGM_RSRC2:USER_SGPR: 6
; COMPUTE_PGM_RSRC2:TRAP_HANDLER: 0
; COMPUTE_PGM_RSRC2:TGID_X_EN: 1
; COMPUTE_PGM_RSRC2:TGID_Y_EN: 1
; COMPUTE_PGM_RSRC2:TGID_Z_EN: 0
; COMPUTE_PGM_RSRC2:TIDIG_COMP_CNT: 1
; COMPUTE_PGM_RSRC3_GFX90A:ACCUM_OFFSET: 6
; COMPUTE_PGM_RSRC3_GFX90A:TG_SPLIT: 0
	.section	.text._ZN2at6native12_GLOBAL__N_130atomicadaptiveaveragegradinputIdEEvPT_PKS3_iiiiiil,"axG",@progbits,_ZN2at6native12_GLOBAL__N_130atomicadaptiveaveragegradinputIdEEvPT_PKS3_iiiiiil,comdat
	.globl	_ZN2at6native12_GLOBAL__N_130atomicadaptiveaveragegradinputIdEEvPT_PKS3_iiiiiil ; -- Begin function _ZN2at6native12_GLOBAL__N_130atomicadaptiveaveragegradinputIdEEvPT_PKS3_iiiiiil
	.p2align	8
	.type	_ZN2at6native12_GLOBAL__N_130atomicadaptiveaveragegradinputIdEEvPT_PKS3_iiiiiil,@function
_ZN2at6native12_GLOBAL__N_130atomicadaptiveaveragegradinputIdEEvPT_PKS3_iiiiiil: ; @_ZN2at6native12_GLOBAL__N_130atomicadaptiveaveragegradinputIdEEvPT_PKS3_iiiiiil
; %bb.0:
	s_load_dwordx8 s[8:15], s[4:5], 0x10
	s_mov_b32 s0, 0
	s_waitcnt lgkmcnt(0)
	s_add_u32 s2, s6, s14
	s_addc_u32 s3, 0, s15
	s_ashr_i32 s15, s11, 31
	s_mov_b32 s14, s11
	s_or_b64 s[16:17], s[2:3], s[14:15]
	s_mov_b32 s1, s17
	s_cmp_lg_u64 s[0:1], 0
	s_cbranch_scc0 .LBB4_45
; %bb.1:
	s_add_u32 s0, s14, s15
	s_mov_b32 s16, s15
	s_mov_b32 s17, s15
	s_addc_u32 s1, s15, s15
	s_xor_b64 s[20:21], s[0:1], s[16:17]
	v_cvt_f32_u32_e32 v1, s20
	v_cvt_f32_u32_e32 v2, s21
	s_sub_u32 s0, 0, s20
	s_subb_u32 s1, 0, s21
	v_madmk_f32 v1, v2, 0x4f800000, v1
	v_rcp_f32_e32 v1, v1
	v_mul_f32_e32 v1, 0x5f7ffffc, v1
	v_mul_f32_e32 v2, 0x2f800000, v1
	v_trunc_f32_e32 v2, v2
	v_madmk_f32 v1, v2, 0xcf800000, v1
	v_cvt_u32_f32_e32 v2, v2
	v_cvt_u32_f32_e32 v1, v1
	v_readfirstlane_b32 s6, v2
	v_readfirstlane_b32 s11, v1
	s_mul_i32 s22, s0, s6
	s_mul_hi_u32 s24, s0, s11
	s_mul_i32 s23, s1, s11
	s_add_i32 s22, s24, s22
	s_add_i32 s22, s22, s23
	s_mul_i32 s25, s0, s11
	s_mul_hi_u32 s23, s11, s22
	s_mul_i32 s24, s11, s22
	s_mul_hi_u32 s11, s11, s25
	s_add_u32 s11, s11, s24
	s_addc_u32 s23, 0, s23
	s_mul_hi_u32 s26, s6, s25
	s_mul_i32 s25, s6, s25
	s_add_u32 s11, s11, s25
	s_mul_hi_u32 s24, s6, s22
	s_addc_u32 s11, s23, s26
	s_addc_u32 s23, s24, 0
	s_mul_i32 s22, s6, s22
	s_add_u32 s11, s11, s22
	s_addc_u32 s22, 0, s23
	v_add_co_u32_e32 v1, vcc, s11, v1
	s_cmp_lg_u64 vcc, 0
	s_addc_u32 s6, s6, s22
	v_readfirstlane_b32 s22, v1
	s_mul_i32 s11, s0, s6
	s_mul_hi_u32 s23, s0, s22
	s_add_i32 s11, s23, s11
	s_mul_i32 s1, s1, s22
	s_add_i32 s11, s11, s1
	s_mul_i32 s0, s0, s22
	s_mul_hi_u32 s23, s6, s0
	s_mul_i32 s24, s6, s0
	s_mul_i32 s26, s22, s11
	s_mul_hi_u32 s0, s22, s0
	s_mul_hi_u32 s25, s22, s11
	s_add_u32 s0, s0, s26
	s_addc_u32 s22, 0, s25
	s_add_u32 s0, s0, s24
	s_mul_hi_u32 s1, s6, s11
	s_addc_u32 s0, s22, s23
	s_addc_u32 s1, s1, 0
	s_mul_i32 s11, s6, s11
	s_add_u32 s0, s0, s11
	s_addc_u32 s1, 0, s1
	v_add_co_u32_e32 v1, vcc, s0, v1
	s_cmp_lg_u64 vcc, 0
	s_addc_u32 s6, s6, s1
	s_ashr_i32 s22, s3, 31
	s_add_u32 s0, s2, s22
	s_mov_b32 s23, s22
	s_addc_u32 s1, s3, s22
	s_xor_b64 s[24:25], s[0:1], s[22:23]
	v_readfirstlane_b32 s11, v1
	s_mul_i32 s1, s24, s6
	s_mul_hi_u32 s26, s24, s11
	s_mul_hi_u32 s0, s24, s6
	s_add_u32 s1, s26, s1
	s_addc_u32 s0, 0, s0
	s_mul_hi_u32 s27, s25, s11
	s_mul_i32 s11, s25, s11
	s_add_u32 s1, s1, s11
	s_mul_hi_u32 s26, s25, s6
	s_addc_u32 s0, s0, s27
	s_addc_u32 s1, s26, 0
	s_mul_i32 s6, s25, s6
	s_add_u32 s6, s0, s6
	s_addc_u32 s11, 0, s1
	s_mul_i32 s0, s20, s11
	s_mul_hi_u32 s1, s20, s6
	s_add_i32 s0, s1, s0
	s_mul_i32 s1, s21, s6
	s_add_i32 s26, s0, s1
	s_mul_i32 s1, s20, s6
	v_mov_b32_e32 v1, s1
	s_sub_i32 s0, s25, s26
	v_sub_co_u32_e32 v1, vcc, s24, v1
	s_cmp_lg_u64 vcc, 0
	s_subb_u32 s24, s0, s21
	v_subrev_co_u32_e64 v2, s[0:1], s20, v1
	s_cmp_lg_u64 s[0:1], 0
	s_subb_u32 s0, s24, 0
	s_cmp_ge_u32 s0, s21
	v_readfirstlane_b32 s24, v2
	s_cselect_b32 s1, -1, 0
	s_cmp_ge_u32 s24, s20
	s_cselect_b32 s24, -1, 0
	s_cmp_eq_u32 s0, s21
	s_cselect_b32 s0, s24, s1
	s_add_u32 s1, s6, 1
	s_addc_u32 s24, s11, 0
	s_add_u32 s27, s6, 2
	s_addc_u32 s28, s11, 0
	s_cmp_lg_u32 s0, 0
	s_cselect_b32 s0, s27, s1
	s_cselect_b32 s1, s28, s24
	s_cmp_lg_u64 vcc, 0
	s_subb_u32 s24, s25, s26
	s_cmp_ge_u32 s24, s21
	v_readfirstlane_b32 s26, v1
	s_cselect_b32 s25, -1, 0
	s_cmp_ge_u32 s26, s20
	s_cselect_b32 s20, -1, 0
	s_cmp_eq_u32 s24, s21
	s_cselect_b32 s20, s20, s25
	s_cmp_lg_u32 s20, 0
	s_cselect_b32 s1, s1, s11
	s_cselect_b32 s0, s0, s6
	s_xor_b64 s[16:17], s[22:23], s[16:17]
	s_xor_b64 s[0:1], s[0:1], s[16:17]
	s_sub_u32 s16, s0, s16
	s_subb_u32 s17, s1, s17
	s_cbranch_execnz .LBB4_3
.LBB4_2:
	v_cvt_f32_u32_e32 v1, s14
	s_sub_i32 s0, 0, s14
	s_mov_b32 s17, 0
	v_rcp_iflag_f32_e32 v1, v1
	v_mul_f32_e32 v1, 0x4f7ffffe, v1
	v_cvt_u32_f32_e32 v1, v1
	v_readfirstlane_b32 s1, v1
	s_mul_i32 s0, s0, s1
	s_mul_hi_u32 s0, s1, s0
	s_add_i32 s1, s1, s0
	s_mul_hi_u32 s0, s2, s1
	s_mul_i32 s6, s0, s14
	s_sub_i32 s6, s2, s6
	s_add_i32 s1, s0, 1
	s_sub_i32 s11, s6, s14
	s_cmp_ge_u32 s6, s14
	s_cselect_b32 s0, s1, s0
	s_cselect_b32 s6, s11, s6
	s_add_i32 s1, s0, 1
	s_cmp_ge_u32 s6, s14
	s_cselect_b32 s16, s1, s0
.LBB4_3:
	s_mul_i32 s0, s16, s15
	s_mul_hi_u32 s1, s16, s14
	s_add_i32 s0, s1, s0
	s_mul_i32 s1, s17, s14
	s_add_i32 s0, s0, s1
	s_mul_i32 s1, s16, s14
	s_sub_u32 s1, s2, s1
	s_subb_u32 s0, s3, s0
	s_ashr_i32 s6, s8, 31
	s_mul_i32 s11, s1, s6
	s_mul_hi_u32 s17, s1, s8
	s_add_i32 s11, s17, s11
	s_mul_i32 s0, s0, s8
	s_add_i32 s19, s11, s0
	s_mul_i32 s18, s1, s8
	s_or_b64 s[0:1], s[18:19], s[14:15]
	s_mov_b32 s0, 0
	s_cmp_lg_u64 s[0:1], 0
	s_mov_b32 s11, s8
	s_cbranch_scc0 .LBB4_46
; %bb.4:
	s_add_u32 s0, s14, s15
	s_mov_b32 s20, s15
	s_mov_b32 s21, s15
	s_addc_u32 s1, s15, s15
	s_xor_b64 s[24:25], s[0:1], s[20:21]
	v_cvt_f32_u32_e32 v1, s24
	v_cvt_f32_u32_e32 v2, s25
	s_sub_u32 s0, 0, s24
	s_subb_u32 s1, 0, s25
	v_madmk_f32 v1, v2, 0x4f800000, v1
	v_rcp_f32_e32 v1, v1
	v_mul_f32_e32 v1, 0x5f7ffffc, v1
	v_mul_f32_e32 v2, 0x2f800000, v1
	v_trunc_f32_e32 v2, v2
	v_madmk_f32 v1, v2, 0xcf800000, v1
	v_cvt_u32_f32_e32 v2, v2
	v_cvt_u32_f32_e32 v1, v1
	v_readfirstlane_b32 s17, v2
	v_readfirstlane_b32 s26, v1
	s_mul_i32 s27, s0, s17
	s_mul_hi_u32 s29, s0, s26
	s_mul_i32 s28, s1, s26
	s_add_i32 s27, s29, s27
	s_add_i32 s27, s27, s28
	s_mul_i32 s30, s0, s26
	s_mul_hi_u32 s28, s26, s27
	s_mul_i32 s29, s26, s27
	s_mul_hi_u32 s26, s26, s30
	s_add_u32 s26, s26, s29
	s_addc_u32 s28, 0, s28
	s_mul_hi_u32 s31, s17, s30
	s_mul_i32 s30, s17, s30
	s_add_u32 s26, s26, s30
	s_mul_hi_u32 s29, s17, s27
	s_addc_u32 s26, s28, s31
	s_addc_u32 s28, s29, 0
	s_mul_i32 s27, s17, s27
	s_add_u32 s26, s26, s27
	s_addc_u32 s27, 0, s28
	v_add_co_u32_e32 v1, vcc, s26, v1
	s_cmp_lg_u64 vcc, 0
	s_addc_u32 s17, s17, s27
	v_readfirstlane_b32 s27, v1
	s_mul_i32 s26, s0, s17
	s_mul_hi_u32 s28, s0, s27
	s_add_i32 s26, s28, s26
	s_mul_i32 s1, s1, s27
	s_add_i32 s26, s26, s1
	s_mul_i32 s0, s0, s27
	s_mul_hi_u32 s28, s17, s0
	s_mul_i32 s29, s17, s0
	s_mul_i32 s31, s27, s26
	s_mul_hi_u32 s0, s27, s0
	s_mul_hi_u32 s30, s27, s26
	s_add_u32 s0, s0, s31
	s_addc_u32 s27, 0, s30
	s_add_u32 s0, s0, s29
	s_mul_hi_u32 s1, s17, s26
	s_addc_u32 s0, s27, s28
	s_addc_u32 s1, s1, 0
	s_mul_i32 s26, s17, s26
	s_add_u32 s0, s0, s26
	s_addc_u32 s1, 0, s1
	v_add_co_u32_e32 v1, vcc, s0, v1
	s_cmp_lg_u64 vcc, 0
	s_addc_u32 s17, s17, s1
	s_ashr_i32 s26, s19, 31
	s_add_u32 s0, s18, s26
	s_mov_b32 s27, s26
	s_addc_u32 s1, s19, s26
	s_xor_b64 s[28:29], s[0:1], s[26:27]
	v_readfirstlane_b32 s30, v1
	s_mul_i32 s1, s28, s17
	s_mul_hi_u32 s31, s28, s30
	s_mul_hi_u32 s0, s28, s17
	s_add_u32 s1, s31, s1
	s_addc_u32 s0, 0, s0
	s_mul_hi_u32 s33, s29, s30
	s_mul_i32 s30, s29, s30
	s_add_u32 s1, s1, s30
	s_mul_hi_u32 s31, s29, s17
	s_addc_u32 s0, s0, s33
	s_addc_u32 s1, s31, 0
	s_mul_i32 s17, s29, s17
	s_add_u32 s17, s0, s17
	s_addc_u32 s0, 0, s1
	s_mul_i32 s0, s24, s0
	s_mul_hi_u32 s1, s24, s17
	s_add_i32 s0, s1, s0
	s_mul_i32 s1, s25, s17
	s_add_i32 s30, s0, s1
	s_mul_i32 s1, s24, s17
	v_mov_b32_e32 v1, s1
	s_sub_i32 s0, s29, s30
	v_sub_co_u32_e32 v1, vcc, s28, v1
	s_cmp_lg_u64 vcc, 0
	s_subb_u32 s28, s0, s25
	v_subrev_co_u32_e64 v2, s[0:1], s24, v1
	s_cmp_lg_u64 s[0:1], 0
	s_subb_u32 s28, s28, 0
	s_cmp_ge_u32 s28, s25
	s_cselect_b32 s31, -1, 0
	v_cmp_le_u32_e64 s[0:1], s24, v2
	s_cmp_eq_u32 s28, s25
	v_cndmask_b32_e64 v2, 0, -1, s[0:1]
	v_mov_b32_e32 v3, s31
	s_cselect_b64 s[0:1], -1, 0
	v_cndmask_b32_e64 v2, v3, v2, s[0:1]
	s_add_u32 s0, s17, 1
	s_add_u32 s1, s17, 2
	v_mov_b32_e32 v3, s0
	v_mov_b32_e32 v4, s1
	v_cmp_ne_u32_e64 s[0:1], 0, v2
	s_cmp_lg_u64 vcc, 0
	v_cndmask_b32_e64 v2, v3, v4, s[0:1]
	s_subb_u32 s0, s29, s30
	s_cmp_ge_u32 s0, s25
	s_cselect_b32 s1, -1, 0
	v_cmp_le_u32_e32 vcc, s24, v1
	s_cmp_eq_u32 s0, s25
	v_cndmask_b32_e64 v1, 0, -1, vcc
	v_mov_b32_e32 v3, s1
	s_cselect_b64 vcc, -1, 0
	v_cndmask_b32_e32 v1, v3, v1, vcc
	v_mov_b32_e32 v3, s17
	v_cmp_ne_u32_e32 vcc, 0, v1
	v_cndmask_b32_e32 v1, v3, v2, vcc
	s_xor_b64 s[0:1], s[26:27], s[20:21]
	v_xor_b32_e32 v1, s0, v1
	v_subrev_co_u32_e32 v4, vcc, s0, v1
	s_load_dword s17, s[4:5], 0x3c
	s_cbranch_execnz .LBB4_6
.LBB4_5:
	v_cvt_f32_u32_e32 v1, s14
	s_sub_i32 s0, 0, s14
	v_rcp_iflag_f32_e32 v1, v1
	v_mul_f32_e32 v1, 0x4f7ffffe, v1
	v_cvt_u32_f32_e32 v1, v1
	v_mul_lo_u32 v2, s0, v1
	v_mul_hi_u32 v2, v1, v2
	v_add_u32_e32 v1, v1, v2
	v_mul_hi_u32 v1, s18, v1
	v_mul_lo_u32 v3, v1, s14
	v_sub_u32_e32 v3, s18, v3
	v_add_u32_e32 v2, 1, v1
	v_subrev_u32_e32 v4, s14, v3
	v_cmp_le_u32_e32 vcc, s14, v3
	v_cndmask_b32_e32 v3, v3, v4, vcc
	v_cndmask_b32_e32 v1, v1, v2, vcc
	v_add_u32_e32 v2, 1, v1
	v_cmp_le_u32_e32 vcc, s14, v3
	v_cndmask_b32_e32 v4, v1, v2, vcc
.LBB4_6:
	s_waitcnt lgkmcnt(0)
	s_lshr_b32 s24, s17, 16
	s_mul_i32 s7, s7, s24
	v_bfe_u32 v1, v0, 10, 10
	v_add_u32_e32 v2, s7, v1
	v_cmp_gt_i32_e32 vcc, s12, v2
	s_and_saveexec_b64 s[0:1], vcc
	s_cbranch_execz .LBB4_44
; %bb.7:
	s_add_u32 s0, s18, s11
	s_addc_u32 s1, s19, s6
	s_add_u32 s6, s0, -1
	s_addc_u32 s7, s1, -1
	s_or_b64 s[0:1], s[6:7], s[14:15]
	s_mov_b32 s0, 0
	s_cmp_lg_u64 s[0:1], 0
	s_mov_b64 s[18:19], -1
	s_cbranch_scc0 .LBB4_47
; %bb.8:
	s_add_u32 s0, s14, s15
	s_mov_b32 s20, s15
	s_mov_b32 s21, s15
	s_addc_u32 s1, s15, s15
	s_xor_b64 s[22:23], s[0:1], s[20:21]
	v_cvt_f32_u32_e32 v1, s22
	v_cvt_f32_u32_e32 v3, s23
	s_sub_u32 s0, 0, s22
	s_subb_u32 s1, 0, s23
	v_madmk_f32 v1, v3, 0x4f800000, v1
	v_rcp_f32_e32 v1, v1
	v_mul_f32_e32 v1, 0x5f7ffffc, v1
	v_mul_f32_e32 v3, 0x2f800000, v1
	v_trunc_f32_e32 v3, v3
	v_madmk_f32 v1, v3, 0xcf800000, v1
	v_cvt_u32_f32_e32 v3, v3
	v_cvt_u32_f32_e32 v1, v1
	v_readfirstlane_b32 s11, v3
	v_readfirstlane_b32 s15, v1
	s_mul_i32 s25, s0, s11
	s_mul_hi_u32 s27, s0, s15
	s_mul_i32 s26, s1, s15
	s_add_i32 s25, s27, s25
	s_add_i32 s25, s25, s26
	s_mul_i32 s28, s0, s15
	s_mul_hi_u32 s26, s15, s25
	s_mul_i32 s27, s15, s25
	s_mul_hi_u32 s15, s15, s28
	s_add_u32 s15, s15, s27
	s_addc_u32 s26, 0, s26
	s_mul_hi_u32 s29, s11, s28
	s_mul_i32 s28, s11, s28
	s_add_u32 s15, s15, s28
	s_mul_hi_u32 s27, s11, s25
	s_addc_u32 s15, s26, s29
	s_addc_u32 s26, s27, 0
	s_mul_i32 s25, s11, s25
	s_add_u32 s15, s15, s25
	s_addc_u32 s25, 0, s26
	v_add_co_u32_e32 v1, vcc, s15, v1
	s_cmp_lg_u64 vcc, 0
	s_addc_u32 s11, s11, s25
	v_readfirstlane_b32 s25, v1
	s_mul_i32 s15, s0, s11
	s_mul_hi_u32 s26, s0, s25
	s_add_i32 s15, s26, s15
	s_mul_i32 s1, s1, s25
	s_add_i32 s15, s15, s1
	s_mul_i32 s0, s0, s25
	s_mul_hi_u32 s26, s11, s0
	s_mul_i32 s27, s11, s0
	s_mul_i32 s29, s25, s15
	s_mul_hi_u32 s0, s25, s0
	s_mul_hi_u32 s28, s25, s15
	s_add_u32 s0, s0, s29
	s_addc_u32 s25, 0, s28
	s_add_u32 s0, s0, s27
	s_mul_hi_u32 s1, s11, s15
	s_addc_u32 s0, s25, s26
	s_addc_u32 s1, s1, 0
	s_mul_i32 s15, s11, s15
	s_add_u32 s0, s0, s15
	s_addc_u32 s1, 0, s1
	v_add_co_u32_e32 v1, vcc, s0, v1
	s_cmp_lg_u64 vcc, 0
	s_addc_u32 s11, s11, s1
	s_ashr_i32 s26, s7, 31
	s_add_u32 s0, s6, s26
	s_mov_b32 s27, s26
	s_addc_u32 s1, s7, s26
	s_xor_b64 s[28:29], s[0:1], s[26:27]
	v_readfirstlane_b32 s7, v1
	s_mul_i32 s1, s28, s11
	s_mul_hi_u32 s15, s28, s7
	s_mul_hi_u32 s0, s28, s11
	s_add_u32 s1, s15, s1
	s_addc_u32 s0, 0, s0
	s_mul_hi_u32 s25, s29, s7
	s_mul_i32 s7, s29, s7
	s_add_u32 s1, s1, s7
	s_mul_hi_u32 s15, s29, s11
	s_addc_u32 s0, s0, s25
	s_addc_u32 s1, s15, 0
	s_mul_i32 s7, s29, s11
	s_add_u32 s7, s0, s7
	s_addc_u32 s0, 0, s1
	s_mul_i32 s0, s22, s0
	s_mul_hi_u32 s1, s22, s7
	s_add_i32 s0, s1, s0
	s_mul_i32 s1, s23, s7
	s_add_i32 s11, s0, s1
	s_mul_i32 s1, s22, s7
	v_mov_b32_e32 v1, s1
	s_sub_i32 s0, s29, s11
	v_sub_co_u32_e32 v1, vcc, s28, v1
	s_cmp_lg_u64 vcc, 0
	s_subb_u32 s15, s0, s23
	v_subrev_co_u32_e64 v3, s[0:1], s22, v1
	s_cmp_lg_u64 s[0:1], 0
	s_subb_u32 s15, s15, 0
	s_cmp_ge_u32 s15, s23
	s_cselect_b32 s25, -1, 0
	v_cmp_le_u32_e64 s[0:1], s22, v3
	s_cmp_eq_u32 s15, s23
	v_cndmask_b32_e64 v3, 0, -1, s[0:1]
	v_mov_b32_e32 v5, s25
	s_cselect_b64 s[0:1], -1, 0
	v_cndmask_b32_e64 v3, v5, v3, s[0:1]
	s_add_u32 s0, s7, 1
	s_add_u32 s1, s7, 2
	v_mov_b32_e32 v5, s0
	v_mov_b32_e32 v6, s1
	v_cmp_ne_u32_e64 s[0:1], 0, v3
	s_cmp_lg_u64 vcc, 0
	v_cndmask_b32_e64 v3, v5, v6, s[0:1]
	s_subb_u32 s0, s29, s11
	s_cmp_ge_u32 s0, s23
	s_cselect_b32 s1, -1, 0
	v_cmp_le_u32_e32 vcc, s22, v1
	s_cmp_eq_u32 s0, s23
	v_cndmask_b32_e64 v1, 0, -1, vcc
	v_mov_b32_e32 v5, s1
	s_cselect_b64 vcc, -1, 0
	v_cndmask_b32_e32 v1, v5, v1, vcc
	v_mov_b32_e32 v5, s7
	v_cmp_ne_u32_e32 vcc, 0, v1
	v_cndmask_b32_e32 v1, v5, v3, vcc
	s_xor_b64 s[0:1], s[26:27], s[20:21]
	v_xor_b32_e32 v1, s0, v1
	v_subrev_co_u32_e32 v6, vcc, s0, v1
	s_load_dword s34, s[4:5], 0x34
	s_cbranch_execnz .LBB4_10
.LBB4_9:
	v_cvt_f32_u32_e32 v1, s14
	s_sub_i32 s0, 0, s14
	v_rcp_iflag_f32_e32 v1, v1
	v_mul_f32_e32 v1, 0x4f7ffffe, v1
	v_cvt_u32_f32_e32 v1, v1
	v_mul_lo_u32 v3, s0, v1
	v_mul_hi_u32 v3, v1, v3
	v_add_u32_e32 v1, v1, v3
	v_mul_hi_u32 v1, s6, v1
	v_mul_lo_u32 v5, v1, s14
	v_sub_u32_e32 v5, s6, v5
	v_add_u32_e32 v3, 1, v1
	v_subrev_u32_e32 v6, s14, v5
	v_cmp_le_u32_e32 vcc, s14, v5
	v_cndmask_b32_e32 v5, v5, v6, vcc
	v_cndmask_b32_e32 v1, v1, v3, vcc
	v_add_u32_e32 v3, 1, v1
	v_cmp_le_u32_e32 vcc, s14, v5
	v_cndmask_b32_e32 v6, v1, v3, vcc
.LBB4_10:
	s_load_dwordx4 s[20:23], s[4:5], 0x0
	s_mul_i32 s0, s16, s8
	s_mul_i32 s5, s13, s12
	v_add_u32_e32 v1, s0, v4
	s_mul_hi_i32 s0, s13, s12
	s_mul_i32 s1, s5, s3
	s_mul_hi_u32 s3, s5, s2
	s_add_i32 s1, s3, s1
	s_mul_i32 s0, s0, s2
	s_add_i32 s1, s1, s0
	s_mul_i32 s0, s5, s2
	s_ashr_i32 s11, s12, 31
	s_ashr_i32 s29, s13, 31
	s_lshl_b64 s[0:1], s[0:1], 3
	s_waitcnt lgkmcnt(0)
	s_add_u32 s31, s22, s0
	s_addc_u32 s33, s23, s1
	s_abs_i32 s38, s13
	v_cvt_f32_u32_e32 v5, s38
	v_sub_u32_e32 v3, v6, v4
	s_brev_b32 s2, -2
	s_mul_i32 s4, s10, s9
	v_rcp_iflag_f32_e32 v5, v5
	v_add_u32_e32 v4, 1, v3
	v_cmp_gt_u32_e64 s[2:3], s2, v3
	v_mul_lo_u32 v8, s4, v1
	v_mul_f32_e32 v3, 0x4f7ffffe, v5
	v_cvt_u32_f32_e32 v3, v3
	v_ashrrev_i32_e32 v9, 31, v8
	s_ashr_i32 s40, s12, 31
	v_lshlrev_b64 v[8:9], 3, v[8:9]
	s_add_i32 s6, s12, s40
	v_mov_b32_e32 v1, s21
	v_add_co_u32_e32 v14, vcc, s20, v8
	s_xor_b32 s41, s6, s40
	s_sub_i32 s6, 0, s38
	v_addc_co_u32_e32 v15, vcc, v1, v9, vcc
	v_and_b32_e32 v16, 0x3ff, v0
	v_cvt_f64_i32_e32 v[0:1], v4
	v_max_i32_e32 v17, 1, v4
	v_cvt_f32_u32_e32 v4, s41
	v_mul_lo_u32 v5, s6, v3
	s_mov_b32 s28, s12
	v_mul_hi_u32 v5, v3, v5
	v_add_u32_e32 v18, v3, v5
	v_cvt_f32_u32_e32 v3, s28
	v_rcp_iflag_f32_e32 v4, v4
	s_sub_i32 s6, 0, s41
	s_ashr_i32 s5, s4, 31
	v_rcp_iflag_f32_e32 v3, v3
	v_mul_f32_e32 v4, 0x4f7ffffe, v4
	v_cvt_u32_f32_e32 v4, v4
	s_mov_b32 s30, s13
	v_mul_f32_e32 v3, 0x4f7ffffe, v3
	v_cvt_u32_f32_e32 v3, v3
	v_mul_lo_u32 v6, s6, v4
	v_mul_hi_u32 v6, v4, v6
	s_sub_i32 s6, 0, s12
	v_add_u32_e32 v19, v4, v6
	v_mul_lo_u32 v4, s6, v3
	v_mul_hi_u32 v4, v3, v4
	s_mul_i32 s34, s34, s24
	s_and_b32 s35, s17, 0xffff
	s_ashr_i32 s36, s9, 31
	s_mov_b32 s37, s9
	v_cmp_gt_i32_e64 s[0:1], s13, v16
	s_ashr_i32 s39, s10, 31
	v_mov_b32_e32 v5, 0
	s_mov_b64 s[14:15], 0
	v_add_u32_e32 v20, v3, v4
	s_lshl_b64 s[16:17], s[4:5], 3
	s_branch .LBB4_12
.LBB4_11:                               ;   in Loop: Header=BB4_12 Depth=1
	s_or_b64 exec, exec, s[18:19]
	v_add_u32_e32 v2, s34, v2
	v_cmp_le_i32_e32 vcc, s12, v2
	s_or_b64 s[14:15], vcc, s[14:15]
	s_andn2_b64 exec, exec, s[14:15]
	s_cbranch_execz .LBB4_44
.LBB4_12:                               ; =>This Loop Header: Depth=1
                                        ;     Child Loop BB4_27 Depth 2
                                        ;       Child Loop BB4_38 Depth 3
                                        ;         Child Loop BB4_41 Depth 4
                                        ;           Child Loop BB4_43 Depth 5
	v_ashrrev_i32_e32 v3, 31, v2
	v_or_b32_e32 v7, s11, v3
	v_mov_b32_e32 v6, v5
	v_cmp_ne_u64_e32 vcc, 0, v[6:7]
                                        ; implicit-def: $vgpr6_vgpr7
	s_and_saveexec_b64 s[4:5], vcc
	s_xor_b64 s[4:5], exec, s[4:5]
	s_cbranch_execz .LBB4_14
; %bb.13:                               ;   in Loop: Header=BB4_12 Depth=1
	v_ashrrev_i32_e32 v4, 31, v2
	v_add_u32_e32 v6, v2, v4
	v_xor_b32_e32 v6, v6, v4
	v_mul_hi_u32 v7, v6, v19
	v_mul_lo_u32 v8, v7, s41
	v_sub_u32_e32 v6, v6, v8
	v_subrev_u32_e32 v8, s41, v6
	v_cmp_le_u32_e32 vcc, s41, v6
	v_cndmask_b32_e32 v6, v6, v8, vcc
	v_add_u32_e32 v8, 1, v7
	v_cndmask_b32_e32 v7, v7, v8, vcc
	v_add_u32_e32 v8, 1, v7
	v_cmp_le_u32_e32 vcc, s41, v6
	v_cndmask_b32_e32 v6, v7, v8, vcc
	v_xor_b32_e32 v4, s40, v4
	v_xor_b32_e32 v6, v6, v4
	v_sub_u32_e32 v6, v6, v4
	v_ashrrev_i32_e32 v7, 31, v6
.LBB4_14:                               ;   in Loop: Header=BB4_12 Depth=1
	s_andn2_saveexec_b64 s[4:5], s[4:5]
	s_cbranch_execz .LBB4_16
; %bb.15:                               ;   in Loop: Header=BB4_12 Depth=1
	v_mul_hi_u32 v4, v2, v20
	v_mul_lo_u32 v6, v4, s28
	v_sub_u32_e32 v6, v2, v6
	v_subrev_u32_e32 v7, s28, v6
	v_cmp_le_u32_e32 vcc, s28, v6
	v_cndmask_b32_e32 v6, v6, v7, vcc
	v_add_u32_e32 v7, 1, v4
	v_cndmask_b32_e32 v4, v4, v7, vcc
	v_add_u32_e32 v7, 1, v4
	v_cmp_le_u32_e32 vcc, s28, v6
	v_cndmask_b32_e32 v4, v4, v7, vcc
	v_pk_mov_b32 v[6:7], v[4:5], v[4:5] op_sel:[0,1]
.LBB4_16:                               ;   in Loop: Header=BB4_12 Depth=1
	s_or_b64 exec, exec, s[4:5]
	v_mul_lo_u32 v4, v7, s28
	v_mul_lo_u32 v7, v6, s11
	v_mad_u64_u32 v[8:9], s[4:5], v6, s28, 0
	v_add3_u32 v4, v9, v7, v4
	v_sub_co_u32_e32 v7, vcc, v2, v8
	v_subb_co_u32_e32 v4, vcc, v3, v4, vcc
	v_mul_lo_u32 v4, v4, s37
	v_mul_lo_u32 v8, v7, s36
	v_mad_u64_u32 v[10:11], s[4:5], v7, s37, 0
	v_add3_u32 v11, v11, v8, v4
	v_or_b32_e32 v9, s11, v11
	v_mov_b32_e32 v8, v5
	v_cmp_ne_u64_e32 vcc, 0, v[8:9]
                                        ; implicit-def: $vgpr8_vgpr9
	s_and_saveexec_b64 s[4:5], vcc
	s_xor_b64 s[6:7], exec, s[4:5]
	s_cbranch_execz .LBB4_18
; %bb.17:                               ;   in Loop: Header=BB4_12 Depth=1
	s_add_u32 s4, s28, s11
	s_mov_b32 s8, s11
	s_mov_b32 s9, s11
	s_addc_u32 s5, s11, s11
	s_xor_b64 s[18:19], s[4:5], s[8:9]
	v_cvt_f32_u32_e32 v4, s18
	v_cvt_f32_u32_e32 v7, s19
	s_sub_u32 s4, 0, s18
	s_subb_u32 s5, 0, s19
	v_mac_f32_e32 v4, 0x4f800000, v7
	v_rcp_f32_e32 v4, v4
	v_mul_f32_e32 v4, 0x5f7ffffc, v4
	v_mul_f32_e32 v7, 0x2f800000, v4
	v_trunc_f32_e32 v7, v7
	v_mac_f32_e32 v4, 0xcf800000, v7
	v_cvt_u32_f32_e32 v7, v7
	v_cvt_u32_f32_e32 v4, v4
	v_mul_lo_u32 v8, s4, v7
	v_mul_hi_u32 v12, s4, v4
	v_mul_lo_u32 v9, s5, v4
	v_add_u32_e32 v8, v12, v8
	v_mul_lo_u32 v13, s4, v4
	v_add_u32_e32 v8, v8, v9
	v_mul_lo_u32 v12, v4, v8
	v_mul_hi_u32 v21, v4, v13
	v_mul_hi_u32 v9, v4, v8
	v_add_co_u32_e32 v12, vcc, v21, v12
	v_addc_co_u32_e32 v9, vcc, 0, v9, vcc
	v_mul_hi_u32 v22, v7, v13
	v_mul_lo_u32 v13, v7, v13
	v_add_co_u32_e32 v12, vcc, v12, v13
	v_mul_hi_u32 v21, v7, v8
	v_addc_co_u32_e32 v9, vcc, v9, v22, vcc
	v_addc_co_u32_e32 v12, vcc, 0, v21, vcc
	v_mul_lo_u32 v8, v7, v8
	v_add_co_u32_e32 v8, vcc, v9, v8
	v_addc_co_u32_e32 v9, vcc, 0, v12, vcc
	v_add_co_u32_e32 v4, vcc, v4, v8
	v_addc_co_u32_e32 v7, vcc, v7, v9, vcc
	v_mul_lo_u32 v8, s4, v7
	v_mul_hi_u32 v9, s4, v4
	v_add_u32_e32 v8, v9, v8
	v_mul_lo_u32 v9, s5, v4
	v_add_u32_e32 v8, v8, v9
	v_mul_lo_u32 v12, s4, v4
	v_mul_hi_u32 v13, v7, v12
	v_mul_lo_u32 v21, v7, v12
	v_mul_lo_u32 v23, v4, v8
	v_mul_hi_u32 v12, v4, v12
	v_mul_hi_u32 v22, v4, v8
	v_add_co_u32_e32 v12, vcc, v12, v23
	v_addc_co_u32_e32 v22, vcc, 0, v22, vcc
	v_add_co_u32_e32 v12, vcc, v12, v21
	v_mul_hi_u32 v9, v7, v8
	v_addc_co_u32_e32 v12, vcc, v22, v13, vcc
	v_addc_co_u32_e32 v9, vcc, 0, v9, vcc
	v_mul_lo_u32 v8, v7, v8
	v_add_co_u32_e32 v8, vcc, v12, v8
	v_addc_co_u32_e32 v9, vcc, 0, v9, vcc
	v_add_co_u32_e32 v4, vcc, v4, v8
	v_addc_co_u32_e32 v7, vcc, v7, v9, vcc
	v_ashrrev_i32_e32 v12, 31, v11
	v_add_co_u32_e32 v8, vcc, v10, v12
	v_addc_co_u32_e32 v9, vcc, v11, v12, vcc
	v_xor_b32_e32 v21, v8, v12
	v_xor_b32_e32 v13, v9, v12
	v_mad_u64_u32 v[8:9], s[4:5], v21, v7, 0
	v_mul_hi_u32 v10, v21, v4
	v_add_co_u32_e32 v22, vcc, v10, v8
	v_addc_co_u32_e32 v23, vcc, 0, v9, vcc
	v_mad_u64_u32 v[10:11], s[4:5], v13, v4, 0
	v_add_co_u32_e32 v4, vcc, v22, v10
	v_mad_u64_u32 v[8:9], s[4:5], v13, v7, 0
	v_addc_co_u32_e32 v4, vcc, v23, v11, vcc
	v_addc_co_u32_e32 v7, vcc, 0, v9, vcc
	v_add_co_u32_e32 v4, vcc, v4, v8
	v_addc_co_u32_e32 v7, vcc, 0, v7, vcc
	v_mul_lo_u32 v10, s19, v4
	v_mul_lo_u32 v7, s18, v7
	v_mad_u64_u32 v[8:9], s[4:5], s18, v4, 0
	v_add3_u32 v7, v9, v7, v10
	v_sub_u32_e32 v9, v13, v7
	v_mov_b32_e32 v10, s19
	v_sub_co_u32_e32 v8, vcc, v21, v8
	v_subb_co_u32_e64 v9, s[4:5], v9, v10, vcc
	v_subrev_co_u32_e64 v10, s[4:5], s18, v8
	v_subbrev_co_u32_e64 v9, s[4:5], 0, v9, s[4:5]
	v_cmp_le_u32_e64 s[4:5], s19, v9
	v_subb_co_u32_e32 v7, vcc, v13, v7, vcc
	v_cndmask_b32_e64 v11, 0, -1, s[4:5]
	v_cmp_le_u32_e64 s[4:5], s18, v10
	v_cmp_le_u32_e32 vcc, s19, v7
	v_cndmask_b32_e64 v10, 0, -1, s[4:5]
	v_cmp_eq_u32_e64 s[4:5], s19, v9
	v_cndmask_b32_e64 v13, 0, -1, vcc
	v_cmp_le_u32_e32 vcc, s18, v8
	v_cndmask_b32_e64 v9, v11, v10, s[4:5]
	v_cndmask_b32_e64 v8, 0, -1, vcc
	v_cmp_eq_u32_e32 vcc, s19, v7
	v_add_co_u32_e64 v10, s[4:5], 2, v4
	v_add_co_u32_e64 v11, s[4:5], 1, v4
	v_cndmask_b32_e32 v7, v13, v8, vcc
	v_cmp_ne_u32_e32 vcc, 0, v9
	v_cndmask_b32_e32 v8, v11, v10, vcc
	v_cmp_ne_u32_e32 vcc, 0, v7
	v_cndmask_b32_e32 v4, v4, v8, vcc
	v_xor_b32_e32 v7, s8, v12
	v_xor_b32_e32 v4, v4, v7
	v_sub_co_u32_e32 v8, vcc, v4, v7
                                        ; implicit-def: $vgpr10_vgpr11
.LBB4_18:                               ;   in Loop: Header=BB4_12 Depth=1
	s_andn2_saveexec_b64 s[4:5], s[6:7]
; %bb.19:                               ;   in Loop: Header=BB4_12 Depth=1
	v_mul_hi_u32 v4, v10, v20
	v_mul_lo_u32 v7, v4, s28
	v_sub_u32_e32 v7, v10, v7
	v_subrev_u32_e32 v8, s28, v7
	v_cmp_le_u32_e32 vcc, s28, v7
	v_cndmask_b32_e32 v7, v7, v8, vcc
	v_add_u32_e32 v8, 1, v4
	v_cndmask_b32_e32 v4, v4, v8, vcc
	v_add_u32_e32 v8, 1, v4
	v_cmp_le_u32_e32 vcc, s28, v7
	v_cndmask_b32_e32 v8, v4, v8, vcc
; %bb.20:                               ;   in Loop: Header=BB4_12 Depth=1
	s_or_b64 exec, exec, s[4:5]
	v_add_co_u32_e32 v4, vcc, 1, v2
	v_addc_co_u32_e32 v3, vcc, 0, v3, vcc
	v_mul_lo_u32 v7, v4, s36
	v_mul_lo_u32 v3, v3, s37
	v_mad_u64_u32 v[10:11], s[4:5], v4, s37, -1
	v_add3_u32 v11, v3, v11, v7
	v_or_b32_e32 v13, s11, v11
	v_mov_b32_e32 v12, v5
	v_cmp_ne_u64_e32 vcc, 0, v[12:13]
                                        ; implicit-def: $vgpr12_vgpr13
	s_and_saveexec_b64 s[4:5], vcc
	s_xor_b64 s[6:7], exec, s[4:5]
	s_cbranch_execnz .LBB4_23
; %bb.21:                               ;   in Loop: Header=BB4_12 Depth=1
	s_andn2_saveexec_b64 s[4:5], s[6:7]
	s_cbranch_execnz .LBB4_24
.LBB4_22:                               ;   in Loop: Header=BB4_12 Depth=1
	s_or_b64 exec, exec, s[4:5]
	s_and_saveexec_b64 s[18:19], s[0:1]
	s_cbranch_execz .LBB4_11
	s_branch .LBB4_25
.LBB4_23:                               ;   in Loop: Header=BB4_12 Depth=1
	s_add_u32 s4, s28, s11
	s_mov_b32 s8, s11
	s_mov_b32 s9, s11
	s_addc_u32 s5, s11, s11
	s_xor_b64 s[18:19], s[4:5], s[8:9]
	v_cvt_f32_u32_e32 v3, s18
	v_cvt_f32_u32_e32 v4, s19
	s_sub_u32 s4, 0, s18
	s_subb_u32 s5, 0, s19
	v_mac_f32_e32 v3, 0x4f800000, v4
	v_rcp_f32_e32 v3, v3
	v_mul_f32_e32 v3, 0x5f7ffffc, v3
	v_mul_f32_e32 v4, 0x2f800000, v3
	v_trunc_f32_e32 v4, v4
	v_mac_f32_e32 v3, 0xcf800000, v4
	v_cvt_u32_f32_e32 v4, v4
	v_cvt_u32_f32_e32 v3, v3
	v_mul_lo_u32 v7, s4, v4
	v_mul_hi_u32 v12, s4, v3
	v_mul_lo_u32 v9, s5, v3
	v_add_u32_e32 v7, v12, v7
	v_mul_lo_u32 v13, s4, v3
	v_add_u32_e32 v7, v7, v9
	v_mul_lo_u32 v12, v3, v7
	v_mul_hi_u32 v21, v3, v13
	v_mul_hi_u32 v9, v3, v7
	v_add_co_u32_e32 v12, vcc, v21, v12
	v_addc_co_u32_e32 v9, vcc, 0, v9, vcc
	v_mul_hi_u32 v22, v4, v13
	v_mul_lo_u32 v13, v4, v13
	v_add_co_u32_e32 v12, vcc, v12, v13
	v_mul_hi_u32 v21, v4, v7
	v_addc_co_u32_e32 v9, vcc, v9, v22, vcc
	v_addc_co_u32_e32 v12, vcc, 0, v21, vcc
	v_mul_lo_u32 v7, v4, v7
	v_add_co_u32_e32 v7, vcc, v9, v7
	v_addc_co_u32_e32 v9, vcc, 0, v12, vcc
	v_add_co_u32_e32 v3, vcc, v3, v7
	v_addc_co_u32_e32 v4, vcc, v4, v9, vcc
	v_mul_lo_u32 v7, s4, v4
	v_mul_hi_u32 v9, s4, v3
	v_add_u32_e32 v7, v9, v7
	v_mul_lo_u32 v9, s5, v3
	v_add_u32_e32 v7, v7, v9
	v_mul_lo_u32 v12, s4, v3
	v_mul_hi_u32 v13, v4, v12
	v_mul_lo_u32 v21, v4, v12
	v_mul_lo_u32 v23, v3, v7
	v_mul_hi_u32 v12, v3, v12
	v_mul_hi_u32 v22, v3, v7
	v_add_co_u32_e32 v12, vcc, v12, v23
	v_addc_co_u32_e32 v22, vcc, 0, v22, vcc
	v_add_co_u32_e32 v12, vcc, v12, v21
	v_mul_hi_u32 v9, v4, v7
	v_addc_co_u32_e32 v12, vcc, v22, v13, vcc
	v_addc_co_u32_e32 v9, vcc, 0, v9, vcc
	v_mul_lo_u32 v7, v4, v7
	v_add_co_u32_e32 v7, vcc, v12, v7
	v_addc_co_u32_e32 v9, vcc, 0, v9, vcc
	v_add_co_u32_e32 v3, vcc, v3, v7
	v_addc_co_u32_e32 v4, vcc, v4, v9, vcc
	v_ashrrev_i32_e32 v7, 31, v11
	v_add_co_u32_e32 v9, vcc, v10, v7
	v_addc_co_u32_e32 v10, vcc, v11, v7, vcc
	v_xor_b32_e32 v9, v9, v7
	v_xor_b32_e32 v21, v10, v7
	v_mad_u64_u32 v[10:11], s[4:5], v9, v4, 0
	v_mul_hi_u32 v12, v9, v3
	v_add_co_u32_e32 v22, vcc, v12, v10
	v_addc_co_u32_e32 v23, vcc, 0, v11, vcc
	v_mad_u64_u32 v[12:13], s[4:5], v21, v3, 0
	v_add_co_u32_e32 v3, vcc, v22, v12
	v_mad_u64_u32 v[10:11], s[4:5], v21, v4, 0
	v_addc_co_u32_e32 v3, vcc, v23, v13, vcc
	v_addc_co_u32_e32 v4, vcc, 0, v11, vcc
	v_add_co_u32_e32 v3, vcc, v3, v10
	v_addc_co_u32_e32 v4, vcc, 0, v4, vcc
	v_mul_lo_u32 v12, s19, v3
	v_mul_lo_u32 v4, s18, v4
	v_mad_u64_u32 v[10:11], s[4:5], s18, v3, 0
	v_add3_u32 v4, v11, v4, v12
	v_sub_u32_e32 v11, v21, v4
	v_mov_b32_e32 v12, s19
	v_sub_co_u32_e32 v9, vcc, v9, v10
	v_subb_co_u32_e64 v10, s[4:5], v11, v12, vcc
	v_subrev_co_u32_e64 v11, s[4:5], s18, v9
	v_subbrev_co_u32_e64 v10, s[4:5], 0, v10, s[4:5]
	v_cmp_le_u32_e64 s[4:5], s19, v10
	v_subb_co_u32_e32 v4, vcc, v21, v4, vcc
	v_cndmask_b32_e64 v12, 0, -1, s[4:5]
	v_cmp_le_u32_e64 s[4:5], s18, v11
	v_cmp_le_u32_e32 vcc, s19, v4
	v_cndmask_b32_e64 v11, 0, -1, s[4:5]
	v_cmp_eq_u32_e64 s[4:5], s19, v10
	v_cndmask_b32_e64 v13, 0, -1, vcc
	v_cmp_le_u32_e32 vcc, s18, v9
	v_cndmask_b32_e64 v10, v12, v11, s[4:5]
	v_cndmask_b32_e64 v9, 0, -1, vcc
	v_cmp_eq_u32_e32 vcc, s19, v4
	v_add_co_u32_e64 v11, s[4:5], 2, v3
	v_add_co_u32_e64 v12, s[4:5], 1, v3
	v_cndmask_b32_e32 v4, v13, v9, vcc
	v_cmp_ne_u32_e32 vcc, 0, v10
	v_cndmask_b32_e32 v9, v12, v11, vcc
	v_cmp_ne_u32_e32 vcc, 0, v4
	v_cndmask_b32_e32 v3, v3, v9, vcc
	v_xor_b32_e32 v4, s8, v7
	v_xor_b32_e32 v3, v3, v4
	v_sub_co_u32_e32 v12, vcc, v3, v4
                                        ; implicit-def: $vgpr10_vgpr11
	s_andn2_saveexec_b64 s[4:5], s[6:7]
	s_cbranch_execz .LBB4_22
.LBB4_24:                               ;   in Loop: Header=BB4_12 Depth=1
	v_mul_hi_u32 v3, v10, v20
	v_mul_lo_u32 v4, v3, s28
	v_sub_u32_e32 v4, v10, v4
	v_subrev_u32_e32 v7, s28, v4
	v_cmp_le_u32_e32 vcc, s28, v4
	v_cndmask_b32_e32 v4, v4, v7, vcc
	v_add_u32_e32 v7, 1, v3
	v_cndmask_b32_e32 v3, v3, v7, vcc
	v_add_u32_e32 v7, 1, v3
	v_cmp_le_u32_e32 vcc, s28, v4
	v_cndmask_b32_e32 v12, v3, v7, vcc
	s_or_b64 exec, exec, s[4:5]
	s_and_saveexec_b64 s[18:19], s[0:1]
	s_cbranch_execz .LBB4_11
.LBB4_25:                               ;   in Loop: Header=BB4_12 Depth=1
	v_mad_u64_u32 v[6:7], s[4:5], v6, s37, v[8:9]
	v_sub_u32_e32 v3, v12, v6
	v_mul_lo_u32 v6, v6, s10
	v_ashrrev_i32_e32 v7, 31, v6
	v_lshlrev_b64 v[6:7], 3, v[6:7]
	v_add_co_u32_e32 v22, vcc, v14, v6
	v_mul_lo_u32 v6, v2, s13
	v_addc_co_u32_e32 v23, vcc, v15, v7, vcc
	v_ashrrev_i32_e32 v7, 31, v6
	v_lshlrev_b64 v[6:7], 3, v[6:7]
	v_add_u32_e32 v21, 1, v3
	v_mov_b32_e32 v3, s33
	v_add_co_u32_e32 v24, vcc, s31, v6
	v_addc_co_u32_e32 v25, vcc, v3, v7, vcc
	v_cvt_f64_i32_e32 v[6:7], v21
	v_cmp_lt_i32_e64 s[4:5], 0, v21
	s_mov_b64 s[20:21], 0
	v_mov_b32_e32 v4, v16
	s_branch .LBB4_27
.LBB4_26:                               ;   in Loop: Header=BB4_27 Depth=2
	v_add_u32_e32 v4, s35, v4
	v_cmp_le_i32_e32 vcc, s13, v4
	s_or_b64 s[20:21], vcc, s[20:21]
	s_andn2_b64 exec, exec, s[20:21]
	s_cbranch_execz .LBB4_11
.LBB4_27:                               ;   Parent Loop BB4_12 Depth=1
                                        ; =>  This Loop Header: Depth=2
                                        ;       Child Loop BB4_38 Depth 3
                                        ;         Child Loop BB4_41 Depth 4
                                        ;           Child Loop BB4_43 Depth 5
	v_mul_hi_u32 v3, v4, v18
	v_mul_lo_u32 v8, v3, s38
	v_sub_u32_e32 v8, v4, v8
	v_add_u32_e32 v9, 1, v3
	v_cmp_le_u32_e32 vcc, s38, v8
	v_cndmask_b32_e32 v3, v3, v9, vcc
	v_subrev_u32_e32 v9, s38, v8
	v_cndmask_b32_e32 v8, v8, v9, vcc
	v_add_u32_e32 v9, 1, v3
	v_cmp_le_u32_e32 vcc, s38, v8
	v_cndmask_b32_e32 v3, v3, v9, vcc
	v_xor_b32_e32 v3, s29, v3
	v_subrev_u32_e32 v3, s29, v3
	v_mad_i64_i32 v[8:9], s[6:7], v3, s30, 0
	v_sub_co_u32_e32 v8, vcc, v4, v8
	v_subb_co_u32_e32 v9, vcc, 0, v9, vcc
	v_mul_lo_u32 v9, v9, s10
	v_mul_lo_u32 v12, v8, s39
	v_mad_u64_u32 v[10:11], s[6:7], v8, s10, 0
	v_add3_u32 v11, v11, v12, v9
	v_or_b32_e32 v9, s29, v11
	v_mov_b32_e32 v8, v5
	v_cmp_ne_u64_e32 vcc, 0, v[8:9]
                                        ; implicit-def: $vgpr8_vgpr9
	s_and_saveexec_b64 s[6:7], vcc
	s_xor_b64 s[8:9], exec, s[6:7]
	s_cbranch_execz .LBB4_29
; %bb.28:                               ;   in Loop: Header=BB4_27 Depth=2
	s_add_u32 s6, s30, s29
	s_mov_b32 s22, s29
	s_mov_b32 s23, s29
	s_addc_u32 s7, s29, s29
	s_xor_b64 s[24:25], s[6:7], s[22:23]
	v_cvt_f32_u32_e32 v8, s24
	v_cvt_f32_u32_e32 v9, s25
	s_sub_u32 s6, 0, s24
	s_subb_u32 s7, 0, s25
	v_mac_f32_e32 v8, 0x4f800000, v9
	v_rcp_f32_e32 v8, v8
	v_mul_f32_e32 v8, 0x5f7ffffc, v8
	v_mul_f32_e32 v9, 0x2f800000, v8
	v_trunc_f32_e32 v9, v9
	v_mac_f32_e32 v8, 0xcf800000, v9
	v_cvt_u32_f32_e32 v9, v9
	v_cvt_u32_f32_e32 v8, v8
	v_mul_lo_u32 v12, s6, v9
	v_mul_hi_u32 v26, s6, v8
	v_mul_lo_u32 v13, s7, v8
	v_add_u32_e32 v12, v26, v12
	v_mul_lo_u32 v27, s6, v8
	v_add_u32_e32 v12, v12, v13
	v_mul_lo_u32 v26, v8, v12
	v_mul_hi_u32 v28, v8, v27
	v_mul_hi_u32 v13, v8, v12
	v_add_co_u32_e32 v26, vcc, v28, v26
	v_addc_co_u32_e32 v13, vcc, 0, v13, vcc
	v_mul_hi_u32 v29, v9, v27
	v_mul_lo_u32 v27, v9, v27
	v_add_co_u32_e32 v26, vcc, v26, v27
	v_mul_hi_u32 v28, v9, v12
	v_addc_co_u32_e32 v13, vcc, v13, v29, vcc
	v_addc_co_u32_e32 v26, vcc, 0, v28, vcc
	v_mul_lo_u32 v12, v9, v12
	v_add_co_u32_e32 v12, vcc, v13, v12
	v_addc_co_u32_e32 v13, vcc, 0, v26, vcc
	v_add_co_u32_e32 v8, vcc, v8, v12
	v_addc_co_u32_e32 v9, vcc, v9, v13, vcc
	v_mul_lo_u32 v12, s6, v9
	v_mul_hi_u32 v13, s6, v8
	v_add_u32_e32 v12, v13, v12
	v_mul_lo_u32 v13, s7, v8
	v_add_u32_e32 v12, v12, v13
	v_mul_lo_u32 v26, s6, v8
	v_mul_hi_u32 v27, v9, v26
	v_mul_lo_u32 v28, v9, v26
	v_mul_lo_u32 v30, v8, v12
	v_mul_hi_u32 v26, v8, v26
	v_mul_hi_u32 v29, v8, v12
	v_add_co_u32_e32 v26, vcc, v26, v30
	v_addc_co_u32_e32 v29, vcc, 0, v29, vcc
	v_add_co_u32_e32 v26, vcc, v26, v28
	v_mul_hi_u32 v13, v9, v12
	v_addc_co_u32_e32 v26, vcc, v29, v27, vcc
	v_addc_co_u32_e32 v13, vcc, 0, v13, vcc
	v_mul_lo_u32 v12, v9, v12
	v_add_co_u32_e32 v12, vcc, v26, v12
	v_addc_co_u32_e32 v13, vcc, 0, v13, vcc
	v_add_co_u32_e32 v12, vcc, v8, v12
	v_addc_co_u32_e32 v13, vcc, v9, v13, vcc
	v_ashrrev_i32_e32 v26, 31, v11
	v_add_co_u32_e32 v8, vcc, v10, v26
	v_addc_co_u32_e32 v9, vcc, v11, v26, vcc
	v_xor_b32_e32 v28, v8, v26
	v_xor_b32_e32 v27, v9, v26
	v_mad_u64_u32 v[8:9], s[6:7], v28, v13, 0
	v_mul_hi_u32 v10, v28, v12
	v_add_co_u32_e32 v29, vcc, v10, v8
	v_addc_co_u32_e32 v30, vcc, 0, v9, vcc
	v_mad_u64_u32 v[10:11], s[6:7], v27, v12, 0
	v_add_co_u32_e32 v10, vcc, v29, v10
	v_mad_u64_u32 v[8:9], s[6:7], v27, v13, 0
	v_addc_co_u32_e32 v10, vcc, v30, v11, vcc
	v_addc_co_u32_e32 v9, vcc, 0, v9, vcc
	v_add_co_u32_e32 v10, vcc, v10, v8
	v_addc_co_u32_e32 v11, vcc, 0, v9, vcc
	v_mul_lo_u32 v12, s25, v10
	v_mul_lo_u32 v13, s24, v11
	v_mad_u64_u32 v[8:9], s[6:7], s24, v10, 0
	v_add3_u32 v9, v9, v13, v12
	v_sub_u32_e32 v12, v27, v9
	v_mov_b32_e32 v13, s25
	v_sub_co_u32_e32 v8, vcc, v28, v8
	v_subb_co_u32_e64 v12, s[6:7], v12, v13, vcc
	v_subrev_co_u32_e64 v13, s[6:7], s24, v8
	v_subbrev_co_u32_e64 v12, s[6:7], 0, v12, s[6:7]
	v_cmp_le_u32_e64 s[6:7], s25, v12
	v_cndmask_b32_e64 v28, 0, -1, s[6:7]
	v_cmp_le_u32_e64 s[6:7], s24, v13
	v_cndmask_b32_e64 v13, 0, -1, s[6:7]
	v_cmp_eq_u32_e64 s[6:7], s25, v12
	v_cndmask_b32_e64 v12, v28, v13, s[6:7]
	v_add_co_u32_e64 v13, s[6:7], 2, v10
	v_subb_co_u32_e32 v9, vcc, v27, v9, vcc
	v_addc_co_u32_e64 v28, s[6:7], 0, v11, s[6:7]
	v_cmp_le_u32_e32 vcc, s25, v9
	v_add_co_u32_e64 v29, s[6:7], 1, v10
	v_cndmask_b32_e64 v27, 0, -1, vcc
	v_cmp_le_u32_e32 vcc, s24, v8
	v_addc_co_u32_e64 v30, s[6:7], 0, v11, s[6:7]
	v_cndmask_b32_e64 v8, 0, -1, vcc
	v_cmp_eq_u32_e32 vcc, s25, v9
	v_cmp_ne_u32_e64 s[6:7], 0, v12
	v_cndmask_b32_e32 v8, v27, v8, vcc
	v_cndmask_b32_e64 v12, v30, v28, s[6:7]
	v_cmp_ne_u32_e32 vcc, 0, v8
	v_cndmask_b32_e64 v9, v29, v13, s[6:7]
	v_cndmask_b32_e32 v8, v11, v12, vcc
	v_cndmask_b32_e32 v9, v10, v9, vcc
	v_xor_b32_e32 v10, s23, v26
	v_xor_b32_e32 v11, s22, v26
	;; [unrolled: 1-line block ×4, first 2 shown]
	v_sub_co_u32_e32 v8, vcc, v8, v11
	v_subb_co_u32_e32 v9, vcc, v12, v10, vcc
                                        ; implicit-def: $vgpr10_vgpr11
.LBB4_29:                               ;   in Loop: Header=BB4_27 Depth=2
	s_or_saveexec_b64 s[6:7], s[8:9]
	v_cvt_f32_u32_e32 v26, s30
	s_xor_b64 exec, exec, s[6:7]
	s_cbranch_execz .LBB4_31
; %bb.30:                               ;   in Loop: Header=BB4_27 Depth=2
	v_rcp_iflag_f32_e32 v8, v26
	s_sub_i32 s8, 0, s30
	v_mul_f32_e32 v8, 0x4f7ffffe, v8
	v_cvt_u32_f32_e32 v8, v8
	v_mul_lo_u32 v9, s8, v8
	v_mul_hi_u32 v9, v8, v9
	v_add_u32_e32 v8, v8, v9
	v_mul_hi_u32 v8, v10, v8
	v_mul_lo_u32 v9, v8, s30
	v_sub_u32_e32 v9, v10, v9
	v_add_u32_e32 v11, 1, v8
	v_subrev_u32_e32 v10, s30, v9
	v_cmp_le_u32_e32 vcc, s30, v9
	v_cndmask_b32_e32 v9, v9, v10, vcc
	v_cndmask_b32_e32 v8, v8, v11, vcc
	v_add_u32_e32 v10, 1, v8
	v_cmp_le_u32_e32 vcc, s30, v9
	v_cndmask_b32_e32 v8, v8, v10, vcc
	v_mov_b32_e32 v9, v5
.LBB4_31:                               ;   in Loop: Header=BB4_27 Depth=2
	s_or_b64 exec, exec, s[6:7]
	v_add_co_u32_e32 v10, vcc, 1, v4
	v_addc_co_u32_e64 v11, s[6:7], 0, 0, vcc
	v_mul_lo_u32 v12, v10, s39
	v_mul_lo_u32 v13, v11, s10
	v_mad_u64_u32 v[10:11], s[6:7], v10, s10, -1
	v_add3_u32 v11, v13, v11, v12
	v_or_b32_e32 v13, s29, v11
	v_mov_b32_e32 v12, v5
	v_cmp_ne_u64_e32 vcc, 0, v[12:13]
                                        ; implicit-def: $vgpr12_vgpr13
	s_and_saveexec_b64 s[6:7], vcc
	s_xor_b64 s[8:9], exec, s[6:7]
	s_cbranch_execnz .LBB4_34
; %bb.32:                               ;   in Loop: Header=BB4_27 Depth=2
	s_andn2_saveexec_b64 s[6:7], s[8:9]
	s_cbranch_execnz .LBB4_35
.LBB4_33:                               ;   in Loop: Header=BB4_27 Depth=2
	s_or_b64 exec, exec, s[6:7]
	s_andn2_b64 vcc, exec, s[2:3]
	s_cbranch_vccnz .LBB4_26
	s_branch .LBB4_36
.LBB4_34:                               ;   in Loop: Header=BB4_27 Depth=2
	s_add_u32 s6, s30, s29
	s_mov_b32 s22, s29
	s_mov_b32 s23, s29
	s_addc_u32 s7, s29, s29
	s_xor_b64 s[24:25], s[6:7], s[22:23]
	v_cvt_f32_u32_e32 v12, s24
	v_cvt_f32_u32_e32 v13, s25
	s_sub_u32 s6, 0, s24
	s_subb_u32 s7, 0, s25
	v_mac_f32_e32 v12, 0x4f800000, v13
	v_rcp_f32_e32 v12, v12
	v_mul_f32_e32 v12, 0x5f7ffffc, v12
	v_mul_f32_e32 v13, 0x2f800000, v12
	v_trunc_f32_e32 v13, v13
	v_mac_f32_e32 v12, 0xcf800000, v13
	v_cvt_u32_f32_e32 v13, v13
	v_cvt_u32_f32_e32 v12, v12
	v_mul_lo_u32 v26, s6, v13
	v_mul_hi_u32 v28, s6, v12
	v_mul_lo_u32 v27, s7, v12
	v_add_u32_e32 v26, v28, v26
	v_mul_lo_u32 v29, s6, v12
	v_add_u32_e32 v26, v26, v27
	v_mul_lo_u32 v28, v12, v26
	v_mul_hi_u32 v30, v12, v29
	v_mul_hi_u32 v27, v12, v26
	v_add_co_u32_e32 v28, vcc, v30, v28
	v_addc_co_u32_e32 v27, vcc, 0, v27, vcc
	v_mul_hi_u32 v31, v13, v29
	v_mul_lo_u32 v29, v13, v29
	v_add_co_u32_e32 v28, vcc, v28, v29
	v_mul_hi_u32 v30, v13, v26
	v_addc_co_u32_e32 v27, vcc, v27, v31, vcc
	v_addc_co_u32_e32 v28, vcc, 0, v30, vcc
	v_mul_lo_u32 v26, v13, v26
	v_add_co_u32_e32 v26, vcc, v27, v26
	v_addc_co_u32_e32 v27, vcc, 0, v28, vcc
	v_add_co_u32_e32 v12, vcc, v12, v26
	v_addc_co_u32_e32 v13, vcc, v13, v27, vcc
	v_mul_lo_u32 v26, s6, v13
	v_mul_hi_u32 v27, s6, v12
	v_add_u32_e32 v26, v27, v26
	v_mul_lo_u32 v27, s7, v12
	v_add_u32_e32 v26, v26, v27
	v_mul_lo_u32 v28, s6, v12
	v_mul_hi_u32 v29, v13, v28
	v_mul_lo_u32 v30, v13, v28
	v_mul_lo_u32 v32, v12, v26
	v_mul_hi_u32 v28, v12, v28
	v_mul_hi_u32 v31, v12, v26
	v_add_co_u32_e32 v28, vcc, v28, v32
	v_addc_co_u32_e32 v31, vcc, 0, v31, vcc
	v_add_co_u32_e32 v28, vcc, v28, v30
	v_mul_hi_u32 v27, v13, v26
	v_addc_co_u32_e32 v28, vcc, v31, v29, vcc
	v_addc_co_u32_e32 v27, vcc, 0, v27, vcc
	v_mul_lo_u32 v26, v13, v26
	v_add_co_u32_e32 v26, vcc, v28, v26
	v_addc_co_u32_e32 v27, vcc, 0, v27, vcc
	v_add_co_u32_e32 v12, vcc, v12, v26
	v_addc_co_u32_e32 v13, vcc, v13, v27, vcc
	v_ashrrev_i32_e32 v26, 31, v11
	v_add_co_u32_e32 v10, vcc, v10, v26
	v_addc_co_u32_e32 v11, vcc, v11, v26, vcc
	v_xor_b32_e32 v28, v10, v26
	v_xor_b32_e32 v27, v11, v26
	v_mad_u64_u32 v[10:11], s[6:7], v28, v13, 0
	v_mul_hi_u32 v29, v28, v12
	v_add_co_u32_e32 v29, vcc, v29, v10
	v_addc_co_u32_e32 v30, vcc, 0, v11, vcc
	v_mad_u64_u32 v[10:11], s[6:7], v27, v13, 0
	v_mad_u64_u32 v[12:13], s[6:7], v27, v12, 0
	v_add_co_u32_e32 v12, vcc, v29, v12
	v_addc_co_u32_e32 v12, vcc, v30, v13, vcc
	v_addc_co_u32_e32 v11, vcc, 0, v11, vcc
	v_add_co_u32_e32 v12, vcc, v12, v10
	v_addc_co_u32_e32 v10, vcc, 0, v11, vcc
	v_mul_lo_u32 v13, s25, v12
	v_mul_lo_u32 v29, s24, v10
	v_mad_u64_u32 v[10:11], s[6:7], s24, v12, 0
	v_add3_u32 v11, v11, v29, v13
	v_sub_u32_e32 v13, v27, v11
	v_mov_b32_e32 v29, s25
	v_sub_co_u32_e32 v10, vcc, v28, v10
	v_subb_co_u32_e64 v13, s[6:7], v13, v29, vcc
	v_subrev_co_u32_e64 v28, s[6:7], s24, v10
	v_subbrev_co_u32_e64 v13, s[6:7], 0, v13, s[6:7]
	v_cmp_le_u32_e64 s[6:7], s25, v13
	v_subb_co_u32_e32 v11, vcc, v27, v11, vcc
	v_cndmask_b32_e64 v29, 0, -1, s[6:7]
	v_cmp_le_u32_e64 s[6:7], s24, v28
	v_cmp_le_u32_e32 vcc, s25, v11
	v_cndmask_b32_e64 v28, 0, -1, s[6:7]
	v_cmp_eq_u32_e64 s[6:7], s25, v13
	v_cndmask_b32_e64 v27, 0, -1, vcc
	v_cmp_le_u32_e32 vcc, s24, v10
	v_cndmask_b32_e64 v13, v29, v28, s[6:7]
	v_cndmask_b32_e64 v10, 0, -1, vcc
	v_cmp_eq_u32_e32 vcc, s25, v11
	v_add_co_u32_e64 v28, s[6:7], 2, v12
	v_add_co_u32_e64 v29, s[6:7], 1, v12
	v_cndmask_b32_e32 v10, v27, v10, vcc
	v_cmp_ne_u32_e32 vcc, 0, v13
	v_cndmask_b32_e32 v11, v29, v28, vcc
	v_cmp_ne_u32_e32 vcc, 0, v10
	v_cndmask_b32_e32 v10, v12, v11, vcc
	v_xor_b32_e32 v11, s22, v26
	v_xor_b32_e32 v10, v10, v11
	v_sub_co_u32_e32 v12, vcc, v10, v11
                                        ; implicit-def: $vgpr26
                                        ; implicit-def: $vgpr10_vgpr11
	s_andn2_saveexec_b64 s[6:7], s[8:9]
	s_cbranch_execz .LBB4_33
.LBB4_35:                               ;   in Loop: Header=BB4_27 Depth=2
	v_rcp_iflag_f32_e32 v11, v26
	s_sub_i32 s8, 0, s30
	v_mul_f32_e32 v11, 0x4f7ffffe, v11
	v_cvt_u32_f32_e32 v11, v11
	v_mul_lo_u32 v12, s8, v11
	v_mul_hi_u32 v12, v11, v12
	v_add_u32_e32 v11, v11, v12
	v_mul_hi_u32 v11, v10, v11
	v_mul_lo_u32 v12, v11, s30
	v_sub_u32_e32 v10, v10, v12
	v_add_u32_e32 v13, 1, v11
	v_subrev_u32_e32 v12, s30, v10
	v_cmp_le_u32_e32 vcc, s30, v10
	v_cndmask_b32_e32 v10, v10, v12, vcc
	v_cndmask_b32_e32 v11, v11, v13, vcc
	v_add_u32_e32 v12, 1, v11
	v_cmp_le_u32_e32 vcc, s30, v10
	v_cndmask_b32_e32 v12, v11, v12, vcc
	s_or_b64 exec, exec, s[6:7]
	s_andn2_b64 vcc, exec, s[2:3]
	s_cbranch_vccnz .LBB4_26
.LBB4_36:                               ;   in Loop: Header=BB4_27 Depth=2
	v_lshlrev_b64 v[10:11], 3, v[4:5]
	v_add_co_u32_e32 v10, vcc, v24, v10
	v_addc_co_u32_e32 v11, vcc, v25, v11, vcc
	global_load_dwordx2 v[10:11], v[10:11], off
	v_mad_i64_i32 v[8:9], s[6:7], v3, s10, v[8:9]
	v_sub_u32_e32 v3, v12, v8
	v_add_u32_e32 v9, 1, v3
	v_mov_b32_e32 v26, v5
	v_mov_b32_e32 v27, v8
	v_ashrrev_i64 v[26:27], 29, v[26:27]
	s_mov_b32 s42, 0
	s_waitcnt vmcnt(0)
	v_div_scale_f64 v[12:13], s[6:7], v[0:1], v[0:1], v[10:11]
	v_rcp_f64_e32 v[28:29], v[12:13]
	v_div_scale_f64 v[30:31], vcc, v[10:11], v[0:1], v[10:11]
	v_fma_f64 v[32:33], -v[12:13], v[28:29], 1.0
	v_fmac_f64_e32 v[28:29], v[28:29], v[32:33]
	v_fma_f64 v[32:33], -v[12:13], v[28:29], 1.0
	v_fmac_f64_e32 v[28:29], v[28:29], v[32:33]
	v_mul_f64 v[32:33], v[30:31], v[28:29]
	v_fma_f64 v[12:13], -v[12:13], v[32:33], v[30:31]
	v_div_fmas_f64 v[12:13], v[12:13], v[28:29], v[32:33]
	v_div_fixup_f64 v[10:11], v[12:13], v[0:1], v[10:11]
	v_div_scale_f64 v[12:13], s[6:7], v[6:7], v[6:7], v[10:11]
	v_rcp_f64_e32 v[28:29], v[12:13]
	v_div_scale_f64 v[32:33], vcc, v[10:11], v[6:7], v[10:11]
	v_cvt_f64_i32_e32 v[30:31], v9
	v_fma_f64 v[34:35], -v[12:13], v[28:29], 1.0
	v_fmac_f64_e32 v[28:29], v[28:29], v[34:35]
	v_fma_f64 v[34:35], -v[12:13], v[28:29], 1.0
	v_fmac_f64_e32 v[28:29], v[28:29], v[34:35]
	v_mul_f64 v[34:35], v[32:33], v[28:29]
	v_fma_f64 v[12:13], -v[12:13], v[34:35], v[32:33]
	v_div_fmas_f64 v[12:13], v[12:13], v[28:29], v[34:35]
	v_div_fixup_f64 v[10:11], v[12:13], v[6:7], v[10:11]
	v_div_scale_f64 v[12:13], s[6:7], v[30:31], v[30:31], v[10:11]
	v_rcp_f64_e32 v[28:29], v[12:13]
	v_add_co_u32_e32 v8, vcc, v22, v26
	v_addc_co_u32_e32 v3, vcc, v23, v27, vcc
	v_fma_f64 v[32:33], -v[12:13], v[28:29], 1.0
	v_fmac_f64_e32 v[28:29], v[28:29], v[32:33]
	v_fma_f64 v[32:33], -v[12:13], v[28:29], 1.0
	v_div_scale_f64 v[26:27], vcc, v[10:11], v[30:31], v[10:11]
	v_fmac_f64_e32 v[28:29], v[28:29], v[32:33]
	v_mul_f64 v[32:33], v[26:27], v[28:29]
	v_fma_f64 v[12:13], -v[12:13], v[32:33], v[26:27]
	s_nop 0
	v_div_fmas_f64 v[12:13], v[12:13], v[28:29], v[32:33]
	v_div_fixup_f64 v[10:11], v[12:13], v[30:31], v[10:11]
	v_cmp_lt_i32_e64 s[6:7], 0, v9
	s_branch .LBB4_38
.LBB4_37:                               ;   in Loop: Header=BB4_38 Depth=3
	s_or_b64 exec, exec, s[8:9]
	s_add_i32 s42, s42, 1
	v_mov_b32_e32 v12, s17
	v_cmp_ne_u32_e32 vcc, s42, v17
	v_add_co_u32_e64 v8, s[8:9], s16, v8
	v_addc_co_u32_e64 v3, s[8:9], v3, v12, s[8:9]
	s_cbranch_vccz .LBB4_26
.LBB4_38:                               ;   Parent Loop BB4_12 Depth=1
                                        ;     Parent Loop BB4_27 Depth=2
                                        ; =>    This Loop Header: Depth=3
                                        ;         Child Loop BB4_41 Depth 4
                                        ;           Child Loop BB4_43 Depth 5
	s_and_saveexec_b64 s[8:9], s[4:5]
	s_cbranch_execz .LBB4_37
; %bb.39:                               ;   in Loop: Header=BB4_38 Depth=3
	s_mov_b32 s43, 0
	s_mov_b64 s[22:23], 0
	s_mov_b32 s44, 0
	s_branch .LBB4_41
.LBB4_40:                               ;   in Loop: Header=BB4_41 Depth=4
	s_or_b64 exec, exec, s[24:25]
	s_add_i32 s44, s44, 1
	s_add_i32 s43, s43, s10
	v_cmp_ge_i32_e32 vcc, s44, v21
	s_or_b64 s[22:23], vcc, s[22:23]
	s_andn2_b64 exec, exec, s[22:23]
	s_cbranch_execz .LBB4_37
.LBB4_41:                               ;   Parent Loop BB4_12 Depth=1
                                        ;     Parent Loop BB4_27 Depth=2
                                        ;       Parent Loop BB4_38 Depth=3
                                        ; =>      This Loop Header: Depth=4
                                        ;           Child Loop BB4_43 Depth 5
	s_and_saveexec_b64 s[24:25], s[6:7]
	s_cbranch_execz .LBB4_40
; %bb.42:                               ;   in Loop: Header=BB4_41 Depth=4
	s_mov_b32 s45, 0
	s_mov_b64 s[26:27], 0
.LBB4_43:                               ;   Parent Loop BB4_12 Depth=1
                                        ;     Parent Loop BB4_27 Depth=2
                                        ;       Parent Loop BB4_38 Depth=3
                                        ;         Parent Loop BB4_41 Depth=4
                                        ; =>        This Inner Loop Header: Depth=5
	s_add_i32 s46, s43, s45
	s_ashr_i32 s47, s46, 31
	s_lshl_b64 s[46:47], s[46:47], 3
	v_mov_b32_e32 v13, s47
	v_add_co_u32_e32 v12, vcc, s46, v8
	v_addc_co_u32_e32 v13, vcc, v3, v13, vcc
	global_atomic_add_f64 v[12:13], v[10:11], off
	s_add_i32 s45, s45, 1
	v_cmp_ge_i32_e32 vcc, s45, v9
	s_or_b64 s[26:27], vcc, s[26:27]
	s_andn2_b64 exec, exec, s[26:27]
	s_cbranch_execnz .LBB4_43
	s_branch .LBB4_40
.LBB4_44:
	s_endpgm
.LBB4_45:
                                        ; implicit-def: $sgpr16_sgpr17
	s_branch .LBB4_2
.LBB4_46:
                                        ; implicit-def: $vgpr4_vgpr5
	s_load_dword s17, s[4:5], 0x3c
	s_branch .LBB4_5
.LBB4_47:
                                        ; implicit-def: $vgpr6_vgpr7
	s_load_dword s34, s[4:5], 0x34
	s_andn2_b64 vcc, exec, s[18:19]
	s_cbranch_vccz .LBB4_9
	s_branch .LBB4_10
	.section	.rodata,"a",@progbits
	.p2align	6, 0x0
	.amdhsa_kernel _ZN2at6native12_GLOBAL__N_130atomicadaptiveaveragegradinputIdEEvPT_PKS3_iiiiiil
		.amdhsa_group_segment_fixed_size 0
		.amdhsa_private_segment_fixed_size 0
		.amdhsa_kernarg_size 304
		.amdhsa_user_sgpr_count 6
		.amdhsa_user_sgpr_private_segment_buffer 1
		.amdhsa_user_sgpr_dispatch_ptr 0
		.amdhsa_user_sgpr_queue_ptr 0
		.amdhsa_user_sgpr_kernarg_segment_ptr 1
		.amdhsa_user_sgpr_dispatch_id 0
		.amdhsa_user_sgpr_flat_scratch_init 0
		.amdhsa_user_sgpr_kernarg_preload_length 0
		.amdhsa_user_sgpr_kernarg_preload_offset 0
		.amdhsa_user_sgpr_private_segment_size 0
		.amdhsa_uses_dynamic_stack 0
		.amdhsa_system_sgpr_private_segment_wavefront_offset 0
		.amdhsa_system_sgpr_workgroup_id_x 1
		.amdhsa_system_sgpr_workgroup_id_y 1
		.amdhsa_system_sgpr_workgroup_id_z 0
		.amdhsa_system_sgpr_workgroup_info 0
		.amdhsa_system_vgpr_workitem_id 1
		.amdhsa_next_free_vgpr 36
		.amdhsa_next_free_sgpr 48
		.amdhsa_accum_offset 36
		.amdhsa_reserve_vcc 1
		.amdhsa_reserve_flat_scratch 0
		.amdhsa_float_round_mode_32 0
		.amdhsa_float_round_mode_16_64 0
		.amdhsa_float_denorm_mode_32 3
		.amdhsa_float_denorm_mode_16_64 3
		.amdhsa_dx10_clamp 1
		.amdhsa_ieee_mode 1
		.amdhsa_fp16_overflow 0
		.amdhsa_tg_split 0
		.amdhsa_exception_fp_ieee_invalid_op 0
		.amdhsa_exception_fp_denorm_src 0
		.amdhsa_exception_fp_ieee_div_zero 0
		.amdhsa_exception_fp_ieee_overflow 0
		.amdhsa_exception_fp_ieee_underflow 0
		.amdhsa_exception_fp_ieee_inexact 0
		.amdhsa_exception_int_div_zero 0
	.end_amdhsa_kernel
	.section	.text._ZN2at6native12_GLOBAL__N_130atomicadaptiveaveragegradinputIdEEvPT_PKS3_iiiiiil,"axG",@progbits,_ZN2at6native12_GLOBAL__N_130atomicadaptiveaveragegradinputIdEEvPT_PKS3_iiiiiil,comdat
.Lfunc_end4:
	.size	_ZN2at6native12_GLOBAL__N_130atomicadaptiveaveragegradinputIdEEvPT_PKS3_iiiiiil, .Lfunc_end4-_ZN2at6native12_GLOBAL__N_130atomicadaptiveaveragegradinputIdEEvPT_PKS3_iiiiiil
                                        ; -- End function
	.section	.AMDGPU.csdata,"",@progbits
; Kernel info:
; codeLenInByte = 6708
; NumSgprs: 52
; NumVgprs: 36
; NumAgprs: 0
; TotalNumVgprs: 36
; ScratchSize: 0
; MemoryBound: 0
; FloatMode: 240
; IeeeMode: 1
; LDSByteSize: 0 bytes/workgroup (compile time only)
; SGPRBlocks: 6
; VGPRBlocks: 4
; NumSGPRsForWavesPerEU: 52
; NumVGPRsForWavesPerEU: 36
; AccumOffset: 36
; Occupancy: 8
; WaveLimiterHint : 0
; COMPUTE_PGM_RSRC2:SCRATCH_EN: 0
; COMPUTE_PGM_RSRC2:USER_SGPR: 6
; COMPUTE_PGM_RSRC2:TRAP_HANDLER: 0
; COMPUTE_PGM_RSRC2:TGID_X_EN: 1
; COMPUTE_PGM_RSRC2:TGID_Y_EN: 1
; COMPUTE_PGM_RSRC2:TGID_Z_EN: 0
; COMPUTE_PGM_RSRC2:TIDIG_COMP_CNT: 1
; COMPUTE_PGM_RSRC3_GFX90A:ACCUM_OFFSET: 8
; COMPUTE_PGM_RSRC3_GFX90A:TG_SPLIT: 0
	.section	.text._ZN2at6native12_GLOBAL__N_130atomicadaptiveaveragegradinputIfEEvPT_PKS3_iiiiiil,"axG",@progbits,_ZN2at6native12_GLOBAL__N_130atomicadaptiveaveragegradinputIfEEvPT_PKS3_iiiiiil,comdat
	.globl	_ZN2at6native12_GLOBAL__N_130atomicadaptiveaveragegradinputIfEEvPT_PKS3_iiiiiil ; -- Begin function _ZN2at6native12_GLOBAL__N_130atomicadaptiveaveragegradinputIfEEvPT_PKS3_iiiiiil
	.p2align	8
	.type	_ZN2at6native12_GLOBAL__N_130atomicadaptiveaveragegradinputIfEEvPT_PKS3_iiiiiil,@function
_ZN2at6native12_GLOBAL__N_130atomicadaptiveaveragegradinputIfEEvPT_PKS3_iiiiiil: ; @_ZN2at6native12_GLOBAL__N_130atomicadaptiveaveragegradinputIfEEvPT_PKS3_iiiiiil
; %bb.0:
	s_load_dwordx8 s[8:15], s[4:5], 0x10
	s_mov_b32 s0, 0
	s_waitcnt lgkmcnt(0)
	s_add_u32 s2, s6, s14
	s_addc_u32 s3, 0, s15
	s_ashr_i32 s15, s11, 31
	s_mov_b32 s14, s11
	s_or_b64 s[16:17], s[2:3], s[14:15]
	s_mov_b32 s1, s17
	s_cmp_lg_u64 s[0:1], 0
	s_cbranch_scc0 .LBB5_45
; %bb.1:
	s_add_u32 s0, s14, s15
	s_mov_b32 s16, s15
	s_mov_b32 s17, s15
	s_addc_u32 s1, s15, s15
	s_xor_b64 s[20:21], s[0:1], s[16:17]
	v_cvt_f32_u32_e32 v1, s20
	v_cvt_f32_u32_e32 v2, s21
	s_sub_u32 s0, 0, s20
	s_subb_u32 s1, 0, s21
	v_madmk_f32 v1, v2, 0x4f800000, v1
	v_rcp_f32_e32 v1, v1
	v_mul_f32_e32 v1, 0x5f7ffffc, v1
	v_mul_f32_e32 v2, 0x2f800000, v1
	v_trunc_f32_e32 v2, v2
	v_madmk_f32 v1, v2, 0xcf800000, v1
	v_cvt_u32_f32_e32 v2, v2
	v_cvt_u32_f32_e32 v1, v1
	v_readfirstlane_b32 s6, v2
	v_readfirstlane_b32 s11, v1
	s_mul_i32 s22, s0, s6
	s_mul_hi_u32 s24, s0, s11
	s_mul_i32 s23, s1, s11
	s_add_i32 s22, s24, s22
	s_add_i32 s22, s22, s23
	s_mul_i32 s25, s0, s11
	s_mul_hi_u32 s23, s11, s22
	s_mul_i32 s24, s11, s22
	s_mul_hi_u32 s11, s11, s25
	s_add_u32 s11, s11, s24
	s_addc_u32 s23, 0, s23
	s_mul_hi_u32 s26, s6, s25
	s_mul_i32 s25, s6, s25
	s_add_u32 s11, s11, s25
	s_mul_hi_u32 s24, s6, s22
	s_addc_u32 s11, s23, s26
	s_addc_u32 s23, s24, 0
	s_mul_i32 s22, s6, s22
	s_add_u32 s11, s11, s22
	s_addc_u32 s22, 0, s23
	v_add_co_u32_e32 v1, vcc, s11, v1
	s_cmp_lg_u64 vcc, 0
	s_addc_u32 s6, s6, s22
	v_readfirstlane_b32 s22, v1
	s_mul_i32 s11, s0, s6
	s_mul_hi_u32 s23, s0, s22
	s_add_i32 s11, s23, s11
	s_mul_i32 s1, s1, s22
	s_add_i32 s11, s11, s1
	s_mul_i32 s0, s0, s22
	s_mul_hi_u32 s23, s6, s0
	s_mul_i32 s24, s6, s0
	s_mul_i32 s26, s22, s11
	s_mul_hi_u32 s0, s22, s0
	s_mul_hi_u32 s25, s22, s11
	s_add_u32 s0, s0, s26
	s_addc_u32 s22, 0, s25
	s_add_u32 s0, s0, s24
	s_mul_hi_u32 s1, s6, s11
	s_addc_u32 s0, s22, s23
	s_addc_u32 s1, s1, 0
	s_mul_i32 s11, s6, s11
	s_add_u32 s0, s0, s11
	s_addc_u32 s1, 0, s1
	v_add_co_u32_e32 v1, vcc, s0, v1
	s_cmp_lg_u64 vcc, 0
	s_addc_u32 s6, s6, s1
	s_ashr_i32 s22, s3, 31
	s_add_u32 s0, s2, s22
	s_mov_b32 s23, s22
	s_addc_u32 s1, s3, s22
	s_xor_b64 s[24:25], s[0:1], s[22:23]
	v_readfirstlane_b32 s11, v1
	s_mul_i32 s1, s24, s6
	s_mul_hi_u32 s26, s24, s11
	s_mul_hi_u32 s0, s24, s6
	s_add_u32 s1, s26, s1
	s_addc_u32 s0, 0, s0
	s_mul_hi_u32 s27, s25, s11
	s_mul_i32 s11, s25, s11
	s_add_u32 s1, s1, s11
	s_mul_hi_u32 s26, s25, s6
	s_addc_u32 s0, s0, s27
	s_addc_u32 s1, s26, 0
	s_mul_i32 s6, s25, s6
	s_add_u32 s6, s0, s6
	s_addc_u32 s11, 0, s1
	s_mul_i32 s0, s20, s11
	s_mul_hi_u32 s1, s20, s6
	s_add_i32 s0, s1, s0
	s_mul_i32 s1, s21, s6
	s_add_i32 s26, s0, s1
	s_mul_i32 s1, s20, s6
	v_mov_b32_e32 v1, s1
	s_sub_i32 s0, s25, s26
	v_sub_co_u32_e32 v1, vcc, s24, v1
	s_cmp_lg_u64 vcc, 0
	s_subb_u32 s24, s0, s21
	v_subrev_co_u32_e64 v2, s[0:1], s20, v1
	s_cmp_lg_u64 s[0:1], 0
	s_subb_u32 s0, s24, 0
	s_cmp_ge_u32 s0, s21
	v_readfirstlane_b32 s24, v2
	s_cselect_b32 s1, -1, 0
	s_cmp_ge_u32 s24, s20
	s_cselect_b32 s24, -1, 0
	s_cmp_eq_u32 s0, s21
	s_cselect_b32 s0, s24, s1
	s_add_u32 s1, s6, 1
	s_addc_u32 s24, s11, 0
	s_add_u32 s27, s6, 2
	s_addc_u32 s28, s11, 0
	s_cmp_lg_u32 s0, 0
	s_cselect_b32 s0, s27, s1
	s_cselect_b32 s1, s28, s24
	s_cmp_lg_u64 vcc, 0
	s_subb_u32 s24, s25, s26
	s_cmp_ge_u32 s24, s21
	v_readfirstlane_b32 s26, v1
	s_cselect_b32 s25, -1, 0
	s_cmp_ge_u32 s26, s20
	s_cselect_b32 s20, -1, 0
	s_cmp_eq_u32 s24, s21
	s_cselect_b32 s20, s20, s25
	s_cmp_lg_u32 s20, 0
	s_cselect_b32 s1, s1, s11
	s_cselect_b32 s0, s0, s6
	s_xor_b64 s[16:17], s[22:23], s[16:17]
	s_xor_b64 s[0:1], s[0:1], s[16:17]
	s_sub_u32 s16, s0, s16
	s_subb_u32 s17, s1, s17
	s_cbranch_execnz .LBB5_3
.LBB5_2:
	v_cvt_f32_u32_e32 v1, s14
	s_sub_i32 s0, 0, s14
	s_mov_b32 s17, 0
	v_rcp_iflag_f32_e32 v1, v1
	v_mul_f32_e32 v1, 0x4f7ffffe, v1
	v_cvt_u32_f32_e32 v1, v1
	v_readfirstlane_b32 s1, v1
	s_mul_i32 s0, s0, s1
	s_mul_hi_u32 s0, s1, s0
	s_add_i32 s1, s1, s0
	s_mul_hi_u32 s0, s2, s1
	s_mul_i32 s6, s0, s14
	s_sub_i32 s6, s2, s6
	s_add_i32 s1, s0, 1
	s_sub_i32 s11, s6, s14
	s_cmp_ge_u32 s6, s14
	s_cselect_b32 s0, s1, s0
	s_cselect_b32 s6, s11, s6
	s_add_i32 s1, s0, 1
	s_cmp_ge_u32 s6, s14
	s_cselect_b32 s16, s1, s0
.LBB5_3:
	s_mul_i32 s0, s16, s15
	s_mul_hi_u32 s1, s16, s14
	s_add_i32 s0, s1, s0
	s_mul_i32 s1, s17, s14
	s_add_i32 s0, s0, s1
	s_mul_i32 s1, s16, s14
	s_sub_u32 s1, s2, s1
	s_subb_u32 s0, s3, s0
	s_ashr_i32 s6, s8, 31
	s_mul_i32 s11, s1, s6
	s_mul_hi_u32 s17, s1, s8
	s_add_i32 s11, s17, s11
	s_mul_i32 s0, s0, s8
	s_add_i32 s19, s11, s0
	s_mul_i32 s18, s1, s8
	s_or_b64 s[0:1], s[18:19], s[14:15]
	s_mov_b32 s0, 0
	s_cmp_lg_u64 s[0:1], 0
	s_mov_b32 s11, s8
	s_cbranch_scc0 .LBB5_46
; %bb.4:
	s_add_u32 s0, s14, s15
	s_mov_b32 s20, s15
	s_mov_b32 s21, s15
	s_addc_u32 s1, s15, s15
	s_xor_b64 s[24:25], s[0:1], s[20:21]
	v_cvt_f32_u32_e32 v1, s24
	v_cvt_f32_u32_e32 v2, s25
	s_sub_u32 s0, 0, s24
	s_subb_u32 s1, 0, s25
	v_madmk_f32 v1, v2, 0x4f800000, v1
	v_rcp_f32_e32 v1, v1
	v_mul_f32_e32 v1, 0x5f7ffffc, v1
	v_mul_f32_e32 v2, 0x2f800000, v1
	v_trunc_f32_e32 v2, v2
	v_madmk_f32 v1, v2, 0xcf800000, v1
	v_cvt_u32_f32_e32 v2, v2
	v_cvt_u32_f32_e32 v1, v1
	v_readfirstlane_b32 s17, v2
	v_readfirstlane_b32 s26, v1
	s_mul_i32 s27, s0, s17
	s_mul_hi_u32 s29, s0, s26
	s_mul_i32 s28, s1, s26
	s_add_i32 s27, s29, s27
	s_add_i32 s27, s27, s28
	s_mul_i32 s30, s0, s26
	s_mul_hi_u32 s28, s26, s27
	s_mul_i32 s29, s26, s27
	s_mul_hi_u32 s26, s26, s30
	s_add_u32 s26, s26, s29
	s_addc_u32 s28, 0, s28
	s_mul_hi_u32 s31, s17, s30
	s_mul_i32 s30, s17, s30
	s_add_u32 s26, s26, s30
	s_mul_hi_u32 s29, s17, s27
	s_addc_u32 s26, s28, s31
	s_addc_u32 s28, s29, 0
	s_mul_i32 s27, s17, s27
	s_add_u32 s26, s26, s27
	s_addc_u32 s27, 0, s28
	v_add_co_u32_e32 v1, vcc, s26, v1
	s_cmp_lg_u64 vcc, 0
	s_addc_u32 s17, s17, s27
	v_readfirstlane_b32 s27, v1
	s_mul_i32 s26, s0, s17
	s_mul_hi_u32 s28, s0, s27
	s_add_i32 s26, s28, s26
	s_mul_i32 s1, s1, s27
	s_add_i32 s26, s26, s1
	s_mul_i32 s0, s0, s27
	s_mul_hi_u32 s28, s17, s0
	s_mul_i32 s29, s17, s0
	s_mul_i32 s31, s27, s26
	s_mul_hi_u32 s0, s27, s0
	s_mul_hi_u32 s30, s27, s26
	s_add_u32 s0, s0, s31
	s_addc_u32 s27, 0, s30
	s_add_u32 s0, s0, s29
	s_mul_hi_u32 s1, s17, s26
	s_addc_u32 s0, s27, s28
	s_addc_u32 s1, s1, 0
	s_mul_i32 s26, s17, s26
	s_add_u32 s0, s0, s26
	s_addc_u32 s1, 0, s1
	v_add_co_u32_e32 v1, vcc, s0, v1
	s_cmp_lg_u64 vcc, 0
	s_addc_u32 s17, s17, s1
	s_ashr_i32 s26, s19, 31
	s_add_u32 s0, s18, s26
	s_mov_b32 s27, s26
	s_addc_u32 s1, s19, s26
	s_xor_b64 s[28:29], s[0:1], s[26:27]
	v_readfirstlane_b32 s30, v1
	s_mul_i32 s1, s28, s17
	s_mul_hi_u32 s31, s28, s30
	s_mul_hi_u32 s0, s28, s17
	s_add_u32 s1, s31, s1
	s_addc_u32 s0, 0, s0
	s_mul_hi_u32 s33, s29, s30
	s_mul_i32 s30, s29, s30
	s_add_u32 s1, s1, s30
	s_mul_hi_u32 s31, s29, s17
	s_addc_u32 s0, s0, s33
	s_addc_u32 s1, s31, 0
	s_mul_i32 s17, s29, s17
	s_add_u32 s17, s0, s17
	s_addc_u32 s0, 0, s1
	s_mul_i32 s0, s24, s0
	s_mul_hi_u32 s1, s24, s17
	s_add_i32 s0, s1, s0
	s_mul_i32 s1, s25, s17
	s_add_i32 s30, s0, s1
	s_mul_i32 s1, s24, s17
	v_mov_b32_e32 v1, s1
	s_sub_i32 s0, s29, s30
	v_sub_co_u32_e32 v1, vcc, s28, v1
	s_cmp_lg_u64 vcc, 0
	s_subb_u32 s28, s0, s25
	v_subrev_co_u32_e64 v2, s[0:1], s24, v1
	s_cmp_lg_u64 s[0:1], 0
	s_subb_u32 s28, s28, 0
	s_cmp_ge_u32 s28, s25
	s_cselect_b32 s31, -1, 0
	v_cmp_le_u32_e64 s[0:1], s24, v2
	s_cmp_eq_u32 s28, s25
	v_cndmask_b32_e64 v2, 0, -1, s[0:1]
	v_mov_b32_e32 v3, s31
	s_cselect_b64 s[0:1], -1, 0
	v_cndmask_b32_e64 v2, v3, v2, s[0:1]
	s_add_u32 s0, s17, 1
	s_add_u32 s1, s17, 2
	v_mov_b32_e32 v3, s0
	v_mov_b32_e32 v4, s1
	v_cmp_ne_u32_e64 s[0:1], 0, v2
	s_cmp_lg_u64 vcc, 0
	v_cndmask_b32_e64 v2, v3, v4, s[0:1]
	s_subb_u32 s0, s29, s30
	s_cmp_ge_u32 s0, s25
	s_cselect_b32 s1, -1, 0
	v_cmp_le_u32_e32 vcc, s24, v1
	s_cmp_eq_u32 s0, s25
	v_cndmask_b32_e64 v1, 0, -1, vcc
	v_mov_b32_e32 v3, s1
	s_cselect_b64 vcc, -1, 0
	v_cndmask_b32_e32 v1, v3, v1, vcc
	v_mov_b32_e32 v3, s17
	v_cmp_ne_u32_e32 vcc, 0, v1
	v_cndmask_b32_e32 v1, v3, v2, vcc
	s_xor_b64 s[0:1], s[26:27], s[20:21]
	v_xor_b32_e32 v1, s0, v1
	v_subrev_co_u32_e32 v4, vcc, s0, v1
	s_load_dword s17, s[4:5], 0x3c
	s_cbranch_execnz .LBB5_6
.LBB5_5:
	v_cvt_f32_u32_e32 v1, s14
	s_sub_i32 s0, 0, s14
	v_rcp_iflag_f32_e32 v1, v1
	v_mul_f32_e32 v1, 0x4f7ffffe, v1
	v_cvt_u32_f32_e32 v1, v1
	v_mul_lo_u32 v2, s0, v1
	v_mul_hi_u32 v2, v1, v2
	v_add_u32_e32 v1, v1, v2
	v_mul_hi_u32 v1, s18, v1
	v_mul_lo_u32 v3, v1, s14
	v_sub_u32_e32 v3, s18, v3
	v_add_u32_e32 v2, 1, v1
	v_subrev_u32_e32 v4, s14, v3
	v_cmp_le_u32_e32 vcc, s14, v3
	v_cndmask_b32_e32 v3, v3, v4, vcc
	v_cndmask_b32_e32 v1, v1, v2, vcc
	v_add_u32_e32 v2, 1, v1
	v_cmp_le_u32_e32 vcc, s14, v3
	v_cndmask_b32_e32 v4, v1, v2, vcc
.LBB5_6:
	s_waitcnt lgkmcnt(0)
	s_lshr_b32 s24, s17, 16
	s_mul_i32 s7, s7, s24
	v_bfe_u32 v1, v0, 10, 10
	v_add_u32_e32 v2, s7, v1
	v_cmp_gt_i32_e32 vcc, s12, v2
	s_and_saveexec_b64 s[0:1], vcc
	s_cbranch_execz .LBB5_44
; %bb.7:
	s_add_u32 s0, s18, s11
	s_addc_u32 s1, s19, s6
	s_add_u32 s6, s0, -1
	s_addc_u32 s7, s1, -1
	s_or_b64 s[0:1], s[6:7], s[14:15]
	s_mov_b32 s0, 0
	s_cmp_lg_u64 s[0:1], 0
	s_mov_b64 s[18:19], -1
	s_cbranch_scc0 .LBB5_47
; %bb.8:
	s_add_u32 s0, s14, s15
	s_mov_b32 s20, s15
	s_mov_b32 s21, s15
	s_addc_u32 s1, s15, s15
	s_xor_b64 s[22:23], s[0:1], s[20:21]
	v_cvt_f32_u32_e32 v1, s22
	v_cvt_f32_u32_e32 v3, s23
	s_sub_u32 s0, 0, s22
	s_subb_u32 s1, 0, s23
	v_madmk_f32 v1, v3, 0x4f800000, v1
	v_rcp_f32_e32 v1, v1
	v_mul_f32_e32 v1, 0x5f7ffffc, v1
	v_mul_f32_e32 v3, 0x2f800000, v1
	v_trunc_f32_e32 v3, v3
	v_madmk_f32 v1, v3, 0xcf800000, v1
	v_cvt_u32_f32_e32 v3, v3
	v_cvt_u32_f32_e32 v1, v1
	v_readfirstlane_b32 s11, v3
	v_readfirstlane_b32 s15, v1
	s_mul_i32 s25, s0, s11
	s_mul_hi_u32 s27, s0, s15
	s_mul_i32 s26, s1, s15
	s_add_i32 s25, s27, s25
	s_add_i32 s25, s25, s26
	s_mul_i32 s28, s0, s15
	s_mul_hi_u32 s26, s15, s25
	s_mul_i32 s27, s15, s25
	s_mul_hi_u32 s15, s15, s28
	s_add_u32 s15, s15, s27
	s_addc_u32 s26, 0, s26
	s_mul_hi_u32 s29, s11, s28
	s_mul_i32 s28, s11, s28
	s_add_u32 s15, s15, s28
	s_mul_hi_u32 s27, s11, s25
	s_addc_u32 s15, s26, s29
	s_addc_u32 s26, s27, 0
	s_mul_i32 s25, s11, s25
	s_add_u32 s15, s15, s25
	s_addc_u32 s25, 0, s26
	v_add_co_u32_e32 v1, vcc, s15, v1
	s_cmp_lg_u64 vcc, 0
	s_addc_u32 s11, s11, s25
	v_readfirstlane_b32 s25, v1
	s_mul_i32 s15, s0, s11
	s_mul_hi_u32 s26, s0, s25
	s_add_i32 s15, s26, s15
	s_mul_i32 s1, s1, s25
	s_add_i32 s15, s15, s1
	s_mul_i32 s0, s0, s25
	s_mul_hi_u32 s26, s11, s0
	s_mul_i32 s27, s11, s0
	s_mul_i32 s29, s25, s15
	s_mul_hi_u32 s0, s25, s0
	s_mul_hi_u32 s28, s25, s15
	s_add_u32 s0, s0, s29
	s_addc_u32 s25, 0, s28
	s_add_u32 s0, s0, s27
	s_mul_hi_u32 s1, s11, s15
	s_addc_u32 s0, s25, s26
	s_addc_u32 s1, s1, 0
	s_mul_i32 s15, s11, s15
	s_add_u32 s0, s0, s15
	s_addc_u32 s1, 0, s1
	v_add_co_u32_e32 v1, vcc, s0, v1
	s_cmp_lg_u64 vcc, 0
	s_addc_u32 s11, s11, s1
	s_ashr_i32 s26, s7, 31
	s_add_u32 s0, s6, s26
	s_mov_b32 s27, s26
	s_addc_u32 s1, s7, s26
	s_xor_b64 s[28:29], s[0:1], s[26:27]
	v_readfirstlane_b32 s7, v1
	s_mul_i32 s1, s28, s11
	s_mul_hi_u32 s15, s28, s7
	s_mul_hi_u32 s0, s28, s11
	s_add_u32 s1, s15, s1
	s_addc_u32 s0, 0, s0
	s_mul_hi_u32 s25, s29, s7
	s_mul_i32 s7, s29, s7
	s_add_u32 s1, s1, s7
	s_mul_hi_u32 s15, s29, s11
	s_addc_u32 s0, s0, s25
	s_addc_u32 s1, s15, 0
	s_mul_i32 s7, s29, s11
	s_add_u32 s7, s0, s7
	s_addc_u32 s0, 0, s1
	s_mul_i32 s0, s22, s0
	s_mul_hi_u32 s1, s22, s7
	s_add_i32 s0, s1, s0
	s_mul_i32 s1, s23, s7
	s_add_i32 s11, s0, s1
	s_mul_i32 s1, s22, s7
	v_mov_b32_e32 v1, s1
	s_sub_i32 s0, s29, s11
	v_sub_co_u32_e32 v1, vcc, s28, v1
	s_cmp_lg_u64 vcc, 0
	s_subb_u32 s15, s0, s23
	v_subrev_co_u32_e64 v3, s[0:1], s22, v1
	s_cmp_lg_u64 s[0:1], 0
	s_subb_u32 s15, s15, 0
	s_cmp_ge_u32 s15, s23
	s_cselect_b32 s25, -1, 0
	v_cmp_le_u32_e64 s[0:1], s22, v3
	s_cmp_eq_u32 s15, s23
	v_cndmask_b32_e64 v3, 0, -1, s[0:1]
	v_mov_b32_e32 v5, s25
	s_cselect_b64 s[0:1], -1, 0
	v_cndmask_b32_e64 v3, v5, v3, s[0:1]
	s_add_u32 s0, s7, 1
	s_add_u32 s1, s7, 2
	v_mov_b32_e32 v5, s0
	v_mov_b32_e32 v6, s1
	v_cmp_ne_u32_e64 s[0:1], 0, v3
	s_cmp_lg_u64 vcc, 0
	v_cndmask_b32_e64 v3, v5, v6, s[0:1]
	s_subb_u32 s0, s29, s11
	s_cmp_ge_u32 s0, s23
	s_cselect_b32 s1, -1, 0
	v_cmp_le_u32_e32 vcc, s22, v1
	s_cmp_eq_u32 s0, s23
	v_cndmask_b32_e64 v1, 0, -1, vcc
	v_mov_b32_e32 v5, s1
	s_cselect_b64 vcc, -1, 0
	v_cndmask_b32_e32 v1, v5, v1, vcc
	v_mov_b32_e32 v5, s7
	v_cmp_ne_u32_e32 vcc, 0, v1
	v_cndmask_b32_e32 v1, v5, v3, vcc
	s_xor_b64 s[0:1], s[26:27], s[20:21]
	v_xor_b32_e32 v1, s0, v1
	v_subrev_co_u32_e32 v6, vcc, s0, v1
	s_load_dword s34, s[4:5], 0x34
	s_cbranch_execnz .LBB5_10
.LBB5_9:
	v_cvt_f32_u32_e32 v1, s14
	s_sub_i32 s0, 0, s14
	v_rcp_iflag_f32_e32 v1, v1
	v_mul_f32_e32 v1, 0x4f7ffffe, v1
	v_cvt_u32_f32_e32 v1, v1
	v_mul_lo_u32 v3, s0, v1
	v_mul_hi_u32 v3, v1, v3
	v_add_u32_e32 v1, v1, v3
	v_mul_hi_u32 v1, s6, v1
	v_mul_lo_u32 v5, v1, s14
	v_sub_u32_e32 v5, s6, v5
	v_add_u32_e32 v3, 1, v1
	v_subrev_u32_e32 v6, s14, v5
	v_cmp_le_u32_e32 vcc, s14, v5
	v_cndmask_b32_e32 v5, v5, v6, vcc
	v_cndmask_b32_e32 v1, v1, v3, vcc
	v_add_u32_e32 v3, 1, v1
	v_cmp_le_u32_e32 vcc, s14, v5
	v_cndmask_b32_e32 v6, v1, v3, vcc
.LBB5_10:
	s_load_dwordx4 s[20:23], s[4:5], 0x0
	s_mul_i32 s0, s16, s8
	s_mul_i32 s5, s13, s12
	v_add_u32_e32 v1, s0, v4
	s_mul_hi_i32 s0, s13, s12
	s_mul_i32 s1, s5, s3
	s_mul_hi_u32 s3, s5, s2
	s_add_i32 s1, s3, s1
	s_mul_i32 s0, s0, s2
	s_add_i32 s1, s1, s0
	s_mul_i32 s0, s5, s2
	s_ashr_i32 s11, s12, 31
	s_ashr_i32 s29, s13, 31
	s_lshl_b64 s[0:1], s[0:1], 2
	s_waitcnt lgkmcnt(0)
	s_add_u32 s31, s22, s0
	s_addc_u32 s33, s23, s1
	s_abs_i32 s38, s13
	v_cvt_f32_u32_e32 v3, s38
	s_mul_i32 s4, s10, s9
	v_mul_lo_u32 v8, s4, v1
	v_ashrrev_i32_e32 v9, 31, v8
	v_rcp_iflag_f32_e32 v3, v3
	v_lshlrev_b64 v[8:9], 2, v[8:9]
	v_mov_b32_e32 v1, s21
	v_add_co_u32_e32 v12, vcc, s20, v8
	v_and_b32_e32 v14, 0x3ff, v0
	v_sub_u32_e32 v0, v6, v4
	s_brev_b32 s2, -2
	v_addc_co_u32_e32 v13, vcc, v1, v9, vcc
	v_add_u32_e32 v1, 1, v0
	v_cmp_gt_u32_e64 s[2:3], s2, v0
	v_mul_f32_e32 v0, 0x4f7ffffe, v3
	v_cvt_u32_f32_e32 v0, v0
	s_ashr_i32 s40, s12, 31
	s_add_i32 s6, s12, s40
	s_xor_b32 s41, s6, s40
	s_sub_i32 s6, 0, s38
	v_cvt_f32_i32_e32 v15, v1
	v_max_i32_e32 v16, 1, v1
	v_cvt_f32_u32_e32 v1, s41
	v_mul_lo_u32 v3, s6, v0
	s_mov_b32 s28, s12
	v_mul_hi_u32 v3, v0, v3
	v_add_u32_e32 v17, v0, v3
	v_cvt_f32_u32_e32 v0, s28
	v_rcp_iflag_f32_e32 v4, v1
	s_sub_i32 s6, 0, s41
	s_ashr_i32 s5, s4, 31
	v_rcp_iflag_f32_e32 v0, v0
	v_mul_f32_e32 v3, 0x4f7ffffe, v4
	v_cvt_u32_f32_e32 v3, v3
	s_mov_b32 s30, s13
	v_mul_f32_e32 v0, 0x4f7ffffe, v0
	v_cvt_u32_f32_e32 v0, v0
	v_mul_lo_u32 v4, s6, v3
	v_mul_hi_u32 v4, v3, v4
	s_sub_i32 s6, 0, s12
	v_add_u32_e32 v18, v3, v4
	v_mul_lo_u32 v3, s6, v0
	v_mul_hi_u32 v3, v0, v3
	s_mul_i32 s34, s34, s24
	s_and_b32 s35, s17, 0xffff
	s_ashr_i32 s36, s9, 31
	s_mov_b32 s37, s9
	v_cmp_gt_i32_e64 s[0:1], s13, v14
	s_ashr_i32 s39, s10, 31
	v_mov_b32_e32 v1, 0
	s_mov_b64 s[14:15], 0
	v_add_u32_e32 v19, v0, v3
	s_lshl_b64 s[16:17], s[4:5], 2
	s_branch .LBB5_12
.LBB5_11:                               ;   in Loop: Header=BB5_12 Depth=1
	s_or_b64 exec, exec, s[18:19]
	v_add_u32_e32 v2, s34, v2
	v_cmp_le_i32_e32 vcc, s12, v2
	s_or_b64 s[14:15], vcc, s[14:15]
	s_andn2_b64 exec, exec, s[14:15]
	s_cbranch_execz .LBB5_44
.LBB5_12:                               ; =>This Loop Header: Depth=1
                                        ;     Child Loop BB5_27 Depth 2
                                        ;       Child Loop BB5_38 Depth 3
                                        ;         Child Loop BB5_41 Depth 4
                                        ;           Child Loop BB5_43 Depth 5
	v_ashrrev_i32_e32 v3, 31, v2
	v_or_b32_e32 v5, s11, v3
	v_mov_b32_e32 v4, v1
	v_cmp_ne_u64_e32 vcc, 0, v[4:5]
                                        ; implicit-def: $vgpr4_vgpr5
	s_and_saveexec_b64 s[4:5], vcc
	s_xor_b64 s[4:5], exec, s[4:5]
	s_cbranch_execz .LBB5_14
; %bb.13:                               ;   in Loop: Header=BB5_12 Depth=1
	v_ashrrev_i32_e32 v0, 31, v2
	v_add_u32_e32 v4, v2, v0
	v_xor_b32_e32 v4, v4, v0
	v_mul_hi_u32 v5, v4, v18
	v_mul_lo_u32 v6, v5, s41
	v_sub_u32_e32 v4, v4, v6
	v_subrev_u32_e32 v6, s41, v4
	v_cmp_le_u32_e32 vcc, s41, v4
	v_cndmask_b32_e32 v4, v4, v6, vcc
	v_add_u32_e32 v6, 1, v5
	v_cndmask_b32_e32 v5, v5, v6, vcc
	v_add_u32_e32 v6, 1, v5
	v_cmp_le_u32_e32 vcc, s41, v4
	v_cndmask_b32_e32 v4, v5, v6, vcc
	v_xor_b32_e32 v0, s40, v0
	v_xor_b32_e32 v4, v4, v0
	v_sub_u32_e32 v4, v4, v0
	v_ashrrev_i32_e32 v5, 31, v4
.LBB5_14:                               ;   in Loop: Header=BB5_12 Depth=1
	s_andn2_saveexec_b64 s[4:5], s[4:5]
	s_cbranch_execz .LBB5_16
; %bb.15:                               ;   in Loop: Header=BB5_12 Depth=1
	v_mul_hi_u32 v0, v2, v19
	v_mul_lo_u32 v4, v0, s28
	v_sub_u32_e32 v4, v2, v4
	v_subrev_u32_e32 v5, s28, v4
	v_cmp_le_u32_e32 vcc, s28, v4
	v_cndmask_b32_e32 v4, v4, v5, vcc
	v_add_u32_e32 v5, 1, v0
	v_cndmask_b32_e32 v0, v0, v5, vcc
	v_add_u32_e32 v5, 1, v0
	v_cmp_le_u32_e32 vcc, s28, v4
	v_cndmask_b32_e32 v0, v0, v5, vcc
	v_pk_mov_b32 v[4:5], v[0:1], v[0:1] op_sel:[0,1]
.LBB5_16:                               ;   in Loop: Header=BB5_12 Depth=1
	s_or_b64 exec, exec, s[4:5]
	v_mul_lo_u32 v0, v5, s28
	v_mul_lo_u32 v5, v4, s11
	v_mad_u64_u32 v[6:7], s[4:5], v4, s28, 0
	v_add3_u32 v0, v7, v5, v0
	v_sub_co_u32_e32 v5, vcc, v2, v6
	v_subb_co_u32_e32 v0, vcc, v3, v0, vcc
	v_mul_lo_u32 v0, v0, s37
	v_mul_lo_u32 v6, v5, s36
	v_mad_u64_u32 v[8:9], s[4:5], v5, s37, 0
	v_add3_u32 v9, v9, v6, v0
	v_or_b32_e32 v7, s11, v9
	v_mov_b32_e32 v6, v1
	v_cmp_ne_u64_e32 vcc, 0, v[6:7]
                                        ; implicit-def: $vgpr6_vgpr7
	s_and_saveexec_b64 s[4:5], vcc
	s_xor_b64 s[6:7], exec, s[4:5]
	s_cbranch_execz .LBB5_18
; %bb.17:                               ;   in Loop: Header=BB5_12 Depth=1
	s_add_u32 s4, s28, s11
	s_mov_b32 s8, s11
	s_mov_b32 s9, s11
	s_addc_u32 s5, s11, s11
	s_xor_b64 s[18:19], s[4:5], s[8:9]
	v_cvt_f32_u32_e32 v0, s18
	v_cvt_f32_u32_e32 v5, s19
	s_sub_u32 s4, 0, s18
	s_subb_u32 s5, 0, s19
	v_mac_f32_e32 v0, 0x4f800000, v5
	v_rcp_f32_e32 v0, v0
	v_mul_f32_e32 v0, 0x5f7ffffc, v0
	v_mul_f32_e32 v5, 0x2f800000, v0
	v_trunc_f32_e32 v5, v5
	v_mac_f32_e32 v0, 0xcf800000, v5
	v_cvt_u32_f32_e32 v5, v5
	v_cvt_u32_f32_e32 v0, v0
	v_mul_lo_u32 v6, s4, v5
	v_mul_hi_u32 v10, s4, v0
	v_mul_lo_u32 v7, s5, v0
	v_add_u32_e32 v6, v10, v6
	v_mul_lo_u32 v11, s4, v0
	v_add_u32_e32 v6, v6, v7
	v_mul_lo_u32 v10, v0, v6
	v_mul_hi_u32 v20, v0, v11
	v_mul_hi_u32 v7, v0, v6
	v_add_co_u32_e32 v10, vcc, v20, v10
	v_addc_co_u32_e32 v7, vcc, 0, v7, vcc
	v_mul_hi_u32 v21, v5, v11
	v_mul_lo_u32 v11, v5, v11
	v_add_co_u32_e32 v10, vcc, v10, v11
	v_mul_hi_u32 v20, v5, v6
	v_addc_co_u32_e32 v7, vcc, v7, v21, vcc
	v_addc_co_u32_e32 v10, vcc, 0, v20, vcc
	v_mul_lo_u32 v6, v5, v6
	v_add_co_u32_e32 v6, vcc, v7, v6
	v_addc_co_u32_e32 v7, vcc, 0, v10, vcc
	v_add_co_u32_e32 v0, vcc, v0, v6
	v_addc_co_u32_e32 v5, vcc, v5, v7, vcc
	v_mul_lo_u32 v6, s4, v5
	v_mul_hi_u32 v7, s4, v0
	v_add_u32_e32 v6, v7, v6
	v_mul_lo_u32 v7, s5, v0
	v_add_u32_e32 v6, v6, v7
	v_mul_lo_u32 v10, s4, v0
	v_mul_hi_u32 v11, v5, v10
	v_mul_lo_u32 v20, v5, v10
	v_mul_lo_u32 v22, v0, v6
	v_mul_hi_u32 v10, v0, v10
	v_mul_hi_u32 v21, v0, v6
	v_add_co_u32_e32 v10, vcc, v10, v22
	v_addc_co_u32_e32 v21, vcc, 0, v21, vcc
	v_add_co_u32_e32 v10, vcc, v10, v20
	v_mul_hi_u32 v7, v5, v6
	v_addc_co_u32_e32 v10, vcc, v21, v11, vcc
	v_addc_co_u32_e32 v7, vcc, 0, v7, vcc
	v_mul_lo_u32 v6, v5, v6
	v_add_co_u32_e32 v6, vcc, v10, v6
	v_addc_co_u32_e32 v7, vcc, 0, v7, vcc
	v_add_co_u32_e32 v0, vcc, v0, v6
	v_addc_co_u32_e32 v5, vcc, v5, v7, vcc
	v_ashrrev_i32_e32 v10, 31, v9
	v_add_co_u32_e32 v6, vcc, v8, v10
	v_addc_co_u32_e32 v7, vcc, v9, v10, vcc
	v_xor_b32_e32 v20, v6, v10
	v_xor_b32_e32 v11, v7, v10
	v_mad_u64_u32 v[6:7], s[4:5], v20, v5, 0
	v_mul_hi_u32 v8, v20, v0
	v_add_co_u32_e32 v21, vcc, v8, v6
	v_addc_co_u32_e32 v22, vcc, 0, v7, vcc
	v_mad_u64_u32 v[8:9], s[4:5], v11, v0, 0
	v_add_co_u32_e32 v0, vcc, v21, v8
	v_mad_u64_u32 v[6:7], s[4:5], v11, v5, 0
	v_addc_co_u32_e32 v0, vcc, v22, v9, vcc
	v_addc_co_u32_e32 v5, vcc, 0, v7, vcc
	v_add_co_u32_e32 v0, vcc, v0, v6
	v_addc_co_u32_e32 v5, vcc, 0, v5, vcc
	v_mul_lo_u32 v8, s19, v0
	v_mul_lo_u32 v5, s18, v5
	v_mad_u64_u32 v[6:7], s[4:5], s18, v0, 0
	v_add3_u32 v5, v7, v5, v8
	v_sub_u32_e32 v7, v11, v5
	v_mov_b32_e32 v8, s19
	v_sub_co_u32_e32 v6, vcc, v20, v6
	v_subb_co_u32_e64 v7, s[4:5], v7, v8, vcc
	v_subrev_co_u32_e64 v8, s[4:5], s18, v6
	v_subbrev_co_u32_e64 v7, s[4:5], 0, v7, s[4:5]
	v_cmp_le_u32_e64 s[4:5], s19, v7
	v_subb_co_u32_e32 v5, vcc, v11, v5, vcc
	v_cndmask_b32_e64 v9, 0, -1, s[4:5]
	v_cmp_le_u32_e64 s[4:5], s18, v8
	v_cmp_le_u32_e32 vcc, s19, v5
	v_cndmask_b32_e64 v8, 0, -1, s[4:5]
	v_cmp_eq_u32_e64 s[4:5], s19, v7
	v_cndmask_b32_e64 v11, 0, -1, vcc
	v_cmp_le_u32_e32 vcc, s18, v6
	v_cndmask_b32_e64 v7, v9, v8, s[4:5]
	v_cndmask_b32_e64 v6, 0, -1, vcc
	v_cmp_eq_u32_e32 vcc, s19, v5
	v_add_co_u32_e64 v8, s[4:5], 2, v0
	v_add_co_u32_e64 v9, s[4:5], 1, v0
	v_cndmask_b32_e32 v5, v11, v6, vcc
	v_cmp_ne_u32_e32 vcc, 0, v7
	v_cndmask_b32_e32 v6, v9, v8, vcc
	v_cmp_ne_u32_e32 vcc, 0, v5
	v_cndmask_b32_e32 v0, v0, v6, vcc
	v_xor_b32_e32 v5, s8, v10
	v_xor_b32_e32 v0, v0, v5
	v_sub_co_u32_e32 v6, vcc, v0, v5
                                        ; implicit-def: $vgpr8_vgpr9
.LBB5_18:                               ;   in Loop: Header=BB5_12 Depth=1
	s_andn2_saveexec_b64 s[4:5], s[6:7]
; %bb.19:                               ;   in Loop: Header=BB5_12 Depth=1
	v_mul_hi_u32 v0, v8, v19
	v_mul_lo_u32 v5, v0, s28
	v_sub_u32_e32 v5, v8, v5
	v_subrev_u32_e32 v6, s28, v5
	v_cmp_le_u32_e32 vcc, s28, v5
	v_cndmask_b32_e32 v5, v5, v6, vcc
	v_add_u32_e32 v6, 1, v0
	v_cndmask_b32_e32 v0, v0, v6, vcc
	v_add_u32_e32 v6, 1, v0
	v_cmp_le_u32_e32 vcc, s28, v5
	v_cndmask_b32_e32 v6, v0, v6, vcc
; %bb.20:                               ;   in Loop: Header=BB5_12 Depth=1
	s_or_b64 exec, exec, s[4:5]
	v_add_co_u32_e32 v0, vcc, 1, v2
	v_addc_co_u32_e32 v3, vcc, 0, v3, vcc
	v_mul_lo_u32 v5, v0, s36
	v_mul_lo_u32 v3, v3, s37
	v_mad_u64_u32 v[8:9], s[4:5], v0, s37, -1
	v_add3_u32 v9, v3, v9, v5
	v_or_b32_e32 v11, s11, v9
	v_mov_b32_e32 v10, v1
	v_cmp_ne_u64_e32 vcc, 0, v[10:11]
                                        ; implicit-def: $vgpr10_vgpr11
	s_and_saveexec_b64 s[4:5], vcc
	s_xor_b64 s[6:7], exec, s[4:5]
	s_cbranch_execnz .LBB5_23
; %bb.21:                               ;   in Loop: Header=BB5_12 Depth=1
	s_andn2_saveexec_b64 s[4:5], s[6:7]
	s_cbranch_execnz .LBB5_24
.LBB5_22:                               ;   in Loop: Header=BB5_12 Depth=1
	s_or_b64 exec, exec, s[4:5]
	s_and_saveexec_b64 s[18:19], s[0:1]
	s_cbranch_execz .LBB5_11
	s_branch .LBB5_25
.LBB5_23:                               ;   in Loop: Header=BB5_12 Depth=1
	s_add_u32 s4, s28, s11
	s_mov_b32 s8, s11
	s_mov_b32 s9, s11
	s_addc_u32 s5, s11, s11
	s_xor_b64 s[18:19], s[4:5], s[8:9]
	v_cvt_f32_u32_e32 v0, s18
	v_cvt_f32_u32_e32 v3, s19
	s_sub_u32 s4, 0, s18
	s_subb_u32 s5, 0, s19
	v_mac_f32_e32 v0, 0x4f800000, v3
	v_rcp_f32_e32 v0, v0
	v_mul_f32_e32 v0, 0x5f7ffffc, v0
	v_mul_f32_e32 v3, 0x2f800000, v0
	v_trunc_f32_e32 v3, v3
	v_mac_f32_e32 v0, 0xcf800000, v3
	v_cvt_u32_f32_e32 v3, v3
	v_cvt_u32_f32_e32 v0, v0
	v_mul_lo_u32 v5, s4, v3
	v_mul_hi_u32 v10, s4, v0
	v_mul_lo_u32 v7, s5, v0
	v_add_u32_e32 v5, v10, v5
	v_mul_lo_u32 v11, s4, v0
	v_add_u32_e32 v5, v5, v7
	v_mul_lo_u32 v10, v0, v5
	v_mul_hi_u32 v20, v0, v11
	v_mul_hi_u32 v7, v0, v5
	v_add_co_u32_e32 v10, vcc, v20, v10
	v_addc_co_u32_e32 v7, vcc, 0, v7, vcc
	v_mul_hi_u32 v21, v3, v11
	v_mul_lo_u32 v11, v3, v11
	v_add_co_u32_e32 v10, vcc, v10, v11
	v_mul_hi_u32 v20, v3, v5
	v_addc_co_u32_e32 v7, vcc, v7, v21, vcc
	v_addc_co_u32_e32 v10, vcc, 0, v20, vcc
	v_mul_lo_u32 v5, v3, v5
	v_add_co_u32_e32 v5, vcc, v7, v5
	v_addc_co_u32_e32 v7, vcc, 0, v10, vcc
	v_add_co_u32_e32 v0, vcc, v0, v5
	v_addc_co_u32_e32 v3, vcc, v3, v7, vcc
	v_mul_lo_u32 v5, s4, v3
	v_mul_hi_u32 v7, s4, v0
	v_add_u32_e32 v5, v7, v5
	v_mul_lo_u32 v7, s5, v0
	v_add_u32_e32 v5, v5, v7
	v_mul_lo_u32 v10, s4, v0
	v_mul_hi_u32 v11, v3, v10
	v_mul_lo_u32 v20, v3, v10
	v_mul_lo_u32 v22, v0, v5
	v_mul_hi_u32 v10, v0, v10
	v_mul_hi_u32 v21, v0, v5
	v_add_co_u32_e32 v10, vcc, v10, v22
	v_addc_co_u32_e32 v21, vcc, 0, v21, vcc
	v_add_co_u32_e32 v10, vcc, v10, v20
	v_mul_hi_u32 v7, v3, v5
	v_addc_co_u32_e32 v10, vcc, v21, v11, vcc
	v_addc_co_u32_e32 v7, vcc, 0, v7, vcc
	v_mul_lo_u32 v5, v3, v5
	v_add_co_u32_e32 v5, vcc, v10, v5
	v_addc_co_u32_e32 v7, vcc, 0, v7, vcc
	v_add_co_u32_e32 v0, vcc, v0, v5
	v_addc_co_u32_e32 v3, vcc, v3, v7, vcc
	v_ashrrev_i32_e32 v5, 31, v9
	v_add_co_u32_e32 v7, vcc, v8, v5
	v_addc_co_u32_e32 v8, vcc, v9, v5, vcc
	v_xor_b32_e32 v7, v7, v5
	v_xor_b32_e32 v20, v8, v5
	v_mad_u64_u32 v[8:9], s[4:5], v7, v3, 0
	v_mul_hi_u32 v10, v7, v0
	v_add_co_u32_e32 v21, vcc, v10, v8
	v_addc_co_u32_e32 v22, vcc, 0, v9, vcc
	v_mad_u64_u32 v[10:11], s[4:5], v20, v0, 0
	v_add_co_u32_e32 v0, vcc, v21, v10
	v_mad_u64_u32 v[8:9], s[4:5], v20, v3, 0
	v_addc_co_u32_e32 v0, vcc, v22, v11, vcc
	v_addc_co_u32_e32 v3, vcc, 0, v9, vcc
	v_add_co_u32_e32 v0, vcc, v0, v8
	v_addc_co_u32_e32 v3, vcc, 0, v3, vcc
	v_mul_lo_u32 v10, s19, v0
	v_mul_lo_u32 v3, s18, v3
	v_mad_u64_u32 v[8:9], s[4:5], s18, v0, 0
	v_add3_u32 v3, v9, v3, v10
	v_sub_u32_e32 v9, v20, v3
	v_mov_b32_e32 v10, s19
	v_sub_co_u32_e32 v7, vcc, v7, v8
	v_subb_co_u32_e64 v8, s[4:5], v9, v10, vcc
	v_subrev_co_u32_e64 v9, s[4:5], s18, v7
	v_subbrev_co_u32_e64 v8, s[4:5], 0, v8, s[4:5]
	v_cmp_le_u32_e64 s[4:5], s19, v8
	v_subb_co_u32_e32 v3, vcc, v20, v3, vcc
	v_cndmask_b32_e64 v10, 0, -1, s[4:5]
	v_cmp_le_u32_e64 s[4:5], s18, v9
	v_cmp_le_u32_e32 vcc, s19, v3
	v_cndmask_b32_e64 v9, 0, -1, s[4:5]
	v_cmp_eq_u32_e64 s[4:5], s19, v8
	v_cndmask_b32_e64 v11, 0, -1, vcc
	v_cmp_le_u32_e32 vcc, s18, v7
	v_cndmask_b32_e64 v8, v10, v9, s[4:5]
	v_cndmask_b32_e64 v7, 0, -1, vcc
	v_cmp_eq_u32_e32 vcc, s19, v3
	v_add_co_u32_e64 v9, s[4:5], 2, v0
	v_add_co_u32_e64 v10, s[4:5], 1, v0
	v_cndmask_b32_e32 v3, v11, v7, vcc
	v_cmp_ne_u32_e32 vcc, 0, v8
	v_cndmask_b32_e32 v7, v10, v9, vcc
	v_cmp_ne_u32_e32 vcc, 0, v3
	v_cndmask_b32_e32 v0, v0, v7, vcc
	v_xor_b32_e32 v3, s8, v5
	v_xor_b32_e32 v0, v0, v3
	v_sub_co_u32_e32 v10, vcc, v0, v3
                                        ; implicit-def: $vgpr8_vgpr9
	s_andn2_saveexec_b64 s[4:5], s[6:7]
	s_cbranch_execz .LBB5_22
.LBB5_24:                               ;   in Loop: Header=BB5_12 Depth=1
	v_mul_hi_u32 v0, v8, v19
	v_mul_lo_u32 v3, v0, s28
	v_sub_u32_e32 v3, v8, v3
	v_subrev_u32_e32 v5, s28, v3
	v_cmp_le_u32_e32 vcc, s28, v3
	v_cndmask_b32_e32 v3, v3, v5, vcc
	v_add_u32_e32 v5, 1, v0
	v_cndmask_b32_e32 v0, v0, v5, vcc
	v_add_u32_e32 v5, 1, v0
	v_cmp_le_u32_e32 vcc, s28, v3
	v_cndmask_b32_e32 v10, v0, v5, vcc
	s_or_b64 exec, exec, s[4:5]
	s_and_saveexec_b64 s[18:19], s[0:1]
	s_cbranch_execz .LBB5_11
.LBB5_25:                               ;   in Loop: Header=BB5_12 Depth=1
	v_mad_u64_u32 v[4:5], s[4:5], v4, s37, v[6:7]
	v_sub_u32_e32 v0, v10, v4
	v_mul_lo_u32 v4, v4, s10
	v_ashrrev_i32_e32 v5, 31, v4
	v_lshlrev_b64 v[4:5], 2, v[4:5]
	v_add_u32_e32 v10, 1, v0
	v_add_co_u32_e32 v11, vcc, v12, v4
	v_mul_lo_u32 v4, v2, s13
	v_addc_co_u32_e32 v20, vcc, v13, v5, vcc
	v_ashrrev_i32_e32 v5, 31, v4
	v_cvt_f32_i32_e32 v23, v10
	v_lshlrev_b64 v[4:5], 2, v[4:5]
	v_mov_b32_e32 v0, s33
	v_add_co_u32_e32 v21, vcc, s31, v4
	v_addc_co_u32_e32 v22, vcc, v0, v5, vcc
	v_cmp_lt_i32_e64 s[4:5], 0, v10
	s_mov_b64 s[20:21], 0
	v_mov_b32_e32 v0, v14
	s_branch .LBB5_27
.LBB5_26:                               ;   in Loop: Header=BB5_27 Depth=2
	v_add_u32_e32 v0, s35, v0
	v_cmp_le_i32_e32 vcc, s13, v0
	s_or_b64 s[20:21], vcc, s[20:21]
	s_andn2_b64 exec, exec, s[20:21]
	s_cbranch_execz .LBB5_11
.LBB5_27:                               ;   Parent Loop BB5_12 Depth=1
                                        ; =>  This Loop Header: Depth=2
                                        ;       Child Loop BB5_38 Depth 3
                                        ;         Child Loop BB5_41 Depth 4
                                        ;           Child Loop BB5_43 Depth 5
	v_mul_hi_u32 v3, v0, v17
	v_mul_lo_u32 v4, v3, s38
	v_sub_u32_e32 v4, v0, v4
	v_add_u32_e32 v5, 1, v3
	v_cmp_le_u32_e32 vcc, s38, v4
	v_cndmask_b32_e32 v3, v3, v5, vcc
	v_subrev_u32_e32 v5, s38, v4
	v_cndmask_b32_e32 v4, v4, v5, vcc
	v_add_u32_e32 v5, 1, v3
	v_cmp_le_u32_e32 vcc, s38, v4
	v_cndmask_b32_e32 v3, v3, v5, vcc
	v_xor_b32_e32 v3, s29, v3
	v_subrev_u32_e32 v3, s29, v3
	v_mad_i64_i32 v[4:5], s[6:7], v3, s30, 0
	v_sub_co_u32_e32 v4, vcc, v0, v4
	v_subb_co_u32_e32 v5, vcc, 0, v5, vcc
	v_mul_lo_u32 v5, v5, s10
	v_mul_lo_u32 v8, v4, s39
	v_mad_u64_u32 v[6:7], s[6:7], v4, s10, 0
	v_add3_u32 v7, v7, v8, v5
	v_or_b32_e32 v5, s29, v7
	v_mov_b32_e32 v4, v1
	v_cmp_ne_u64_e32 vcc, 0, v[4:5]
                                        ; implicit-def: $vgpr4_vgpr5
	s_and_saveexec_b64 s[6:7], vcc
	s_xor_b64 s[8:9], exec, s[6:7]
	s_cbranch_execz .LBB5_29
; %bb.28:                               ;   in Loop: Header=BB5_27 Depth=2
	s_add_u32 s6, s30, s29
	s_mov_b32 s22, s29
	s_mov_b32 s23, s29
	s_addc_u32 s7, s29, s29
	s_xor_b64 s[24:25], s[6:7], s[22:23]
	v_cvt_f32_u32_e32 v4, s24
	v_cvt_f32_u32_e32 v5, s25
	s_sub_u32 s6, 0, s24
	s_subb_u32 s7, 0, s25
	v_mac_f32_e32 v4, 0x4f800000, v5
	v_rcp_f32_e32 v4, v4
	v_mul_f32_e32 v4, 0x5f7ffffc, v4
	v_mul_f32_e32 v5, 0x2f800000, v4
	v_trunc_f32_e32 v5, v5
	v_mac_f32_e32 v4, 0xcf800000, v5
	v_cvt_u32_f32_e32 v5, v5
	v_cvt_u32_f32_e32 v4, v4
	v_mul_lo_u32 v8, s6, v5
	v_mul_hi_u32 v24, s6, v4
	v_mul_lo_u32 v9, s7, v4
	v_add_u32_e32 v8, v24, v8
	v_mul_lo_u32 v25, s6, v4
	v_add_u32_e32 v8, v8, v9
	v_mul_lo_u32 v24, v4, v8
	v_mul_hi_u32 v26, v4, v25
	v_mul_hi_u32 v9, v4, v8
	v_add_co_u32_e32 v24, vcc, v26, v24
	v_addc_co_u32_e32 v9, vcc, 0, v9, vcc
	v_mul_hi_u32 v27, v5, v25
	v_mul_lo_u32 v25, v5, v25
	v_add_co_u32_e32 v24, vcc, v24, v25
	v_mul_hi_u32 v26, v5, v8
	v_addc_co_u32_e32 v9, vcc, v9, v27, vcc
	v_addc_co_u32_e32 v24, vcc, 0, v26, vcc
	v_mul_lo_u32 v8, v5, v8
	v_add_co_u32_e32 v8, vcc, v9, v8
	v_addc_co_u32_e32 v9, vcc, 0, v24, vcc
	v_add_co_u32_e32 v4, vcc, v4, v8
	v_addc_co_u32_e32 v5, vcc, v5, v9, vcc
	v_mul_lo_u32 v8, s6, v5
	v_mul_hi_u32 v9, s6, v4
	v_add_u32_e32 v8, v9, v8
	v_mul_lo_u32 v9, s7, v4
	v_add_u32_e32 v8, v8, v9
	v_mul_lo_u32 v24, s6, v4
	v_mul_hi_u32 v25, v5, v24
	v_mul_lo_u32 v26, v5, v24
	v_mul_lo_u32 v28, v4, v8
	v_mul_hi_u32 v24, v4, v24
	v_mul_hi_u32 v27, v4, v8
	v_add_co_u32_e32 v24, vcc, v24, v28
	v_addc_co_u32_e32 v27, vcc, 0, v27, vcc
	v_add_co_u32_e32 v24, vcc, v24, v26
	v_mul_hi_u32 v9, v5, v8
	v_addc_co_u32_e32 v24, vcc, v27, v25, vcc
	v_addc_co_u32_e32 v9, vcc, 0, v9, vcc
	v_mul_lo_u32 v8, v5, v8
	v_add_co_u32_e32 v8, vcc, v24, v8
	v_addc_co_u32_e32 v9, vcc, 0, v9, vcc
	v_add_co_u32_e32 v8, vcc, v4, v8
	v_addc_co_u32_e32 v9, vcc, v5, v9, vcc
	v_ashrrev_i32_e32 v24, 31, v7
	v_add_co_u32_e32 v4, vcc, v6, v24
	v_addc_co_u32_e32 v5, vcc, v7, v24, vcc
	v_xor_b32_e32 v26, v4, v24
	v_xor_b32_e32 v25, v5, v24
	v_mad_u64_u32 v[4:5], s[6:7], v26, v9, 0
	v_mul_hi_u32 v6, v26, v8
	v_add_co_u32_e32 v27, vcc, v6, v4
	v_addc_co_u32_e32 v28, vcc, 0, v5, vcc
	v_mad_u64_u32 v[6:7], s[6:7], v25, v8, 0
	v_add_co_u32_e32 v6, vcc, v27, v6
	v_mad_u64_u32 v[4:5], s[6:7], v25, v9, 0
	v_addc_co_u32_e32 v6, vcc, v28, v7, vcc
	v_addc_co_u32_e32 v5, vcc, 0, v5, vcc
	v_add_co_u32_e32 v6, vcc, v6, v4
	v_addc_co_u32_e32 v7, vcc, 0, v5, vcc
	v_mul_lo_u32 v8, s25, v6
	v_mul_lo_u32 v9, s24, v7
	v_mad_u64_u32 v[4:5], s[6:7], s24, v6, 0
	v_add3_u32 v5, v5, v9, v8
	v_sub_u32_e32 v8, v25, v5
	v_mov_b32_e32 v9, s25
	v_sub_co_u32_e32 v4, vcc, v26, v4
	v_subb_co_u32_e64 v8, s[6:7], v8, v9, vcc
	v_subrev_co_u32_e64 v9, s[6:7], s24, v4
	v_subbrev_co_u32_e64 v8, s[6:7], 0, v8, s[6:7]
	v_cmp_le_u32_e64 s[6:7], s25, v8
	v_cndmask_b32_e64 v26, 0, -1, s[6:7]
	v_cmp_le_u32_e64 s[6:7], s24, v9
	v_cndmask_b32_e64 v9, 0, -1, s[6:7]
	v_cmp_eq_u32_e64 s[6:7], s25, v8
	v_cndmask_b32_e64 v8, v26, v9, s[6:7]
	v_add_co_u32_e64 v9, s[6:7], 2, v6
	v_subb_co_u32_e32 v5, vcc, v25, v5, vcc
	v_addc_co_u32_e64 v26, s[6:7], 0, v7, s[6:7]
	v_cmp_le_u32_e32 vcc, s25, v5
	v_add_co_u32_e64 v27, s[6:7], 1, v6
	v_cndmask_b32_e64 v25, 0, -1, vcc
	v_cmp_le_u32_e32 vcc, s24, v4
	v_addc_co_u32_e64 v28, s[6:7], 0, v7, s[6:7]
	v_cndmask_b32_e64 v4, 0, -1, vcc
	v_cmp_eq_u32_e32 vcc, s25, v5
	v_cmp_ne_u32_e64 s[6:7], 0, v8
	v_cndmask_b32_e32 v4, v25, v4, vcc
	v_cndmask_b32_e64 v8, v28, v26, s[6:7]
	v_cmp_ne_u32_e32 vcc, 0, v4
	v_cndmask_b32_e64 v5, v27, v9, s[6:7]
	v_cndmask_b32_e32 v4, v7, v8, vcc
	v_cndmask_b32_e32 v5, v6, v5, vcc
	v_xor_b32_e32 v6, s23, v24
	v_xor_b32_e32 v7, s22, v24
	v_xor_b32_e32 v8, v4, v6
	v_xor_b32_e32 v4, v5, v7
	v_sub_co_u32_e32 v4, vcc, v4, v7
	v_subb_co_u32_e32 v5, vcc, v8, v6, vcc
                                        ; implicit-def: $vgpr6_vgpr7
.LBB5_29:                               ;   in Loop: Header=BB5_27 Depth=2
	s_or_saveexec_b64 s[6:7], s[8:9]
	v_cvt_f32_u32_e32 v24, s30
	s_xor_b64 exec, exec, s[6:7]
	s_cbranch_execz .LBB5_31
; %bb.30:                               ;   in Loop: Header=BB5_27 Depth=2
	v_rcp_iflag_f32_e32 v4, v24
	s_sub_i32 s8, 0, s30
	v_mul_f32_e32 v4, 0x4f7ffffe, v4
	v_cvt_u32_f32_e32 v4, v4
	v_mul_lo_u32 v5, s8, v4
	v_mul_hi_u32 v5, v4, v5
	v_add_u32_e32 v4, v4, v5
	v_mul_hi_u32 v4, v6, v4
	v_mul_lo_u32 v5, v4, s30
	v_sub_u32_e32 v5, v6, v5
	v_add_u32_e32 v7, 1, v4
	v_subrev_u32_e32 v6, s30, v5
	v_cmp_le_u32_e32 vcc, s30, v5
	v_cndmask_b32_e32 v5, v5, v6, vcc
	v_cndmask_b32_e32 v4, v4, v7, vcc
	v_add_u32_e32 v6, 1, v4
	v_cmp_le_u32_e32 vcc, s30, v5
	v_cndmask_b32_e32 v4, v4, v6, vcc
	v_mov_b32_e32 v5, v1
.LBB5_31:                               ;   in Loop: Header=BB5_27 Depth=2
	s_or_b64 exec, exec, s[6:7]
	v_add_co_u32_e32 v6, vcc, 1, v0
	v_addc_co_u32_e64 v7, s[6:7], 0, 0, vcc
	v_mul_lo_u32 v8, v6, s39
	v_mul_lo_u32 v9, v7, s10
	v_mad_u64_u32 v[6:7], s[6:7], v6, s10, -1
	v_add3_u32 v7, v9, v7, v8
	v_or_b32_e32 v9, s29, v7
	v_mov_b32_e32 v8, v1
	v_cmp_ne_u64_e32 vcc, 0, v[8:9]
                                        ; implicit-def: $vgpr8_vgpr9
	s_and_saveexec_b64 s[6:7], vcc
	s_xor_b64 s[8:9], exec, s[6:7]
	s_cbranch_execnz .LBB5_34
; %bb.32:                               ;   in Loop: Header=BB5_27 Depth=2
	s_andn2_saveexec_b64 s[6:7], s[8:9]
	s_cbranch_execnz .LBB5_35
.LBB5_33:                               ;   in Loop: Header=BB5_27 Depth=2
	s_or_b64 exec, exec, s[6:7]
	s_andn2_b64 vcc, exec, s[2:3]
	s_cbranch_vccnz .LBB5_26
	s_branch .LBB5_36
.LBB5_34:                               ;   in Loop: Header=BB5_27 Depth=2
	s_add_u32 s6, s30, s29
	s_mov_b32 s22, s29
	s_mov_b32 s23, s29
	s_addc_u32 s7, s29, s29
	s_xor_b64 s[24:25], s[6:7], s[22:23]
	v_cvt_f32_u32_e32 v8, s24
	v_cvt_f32_u32_e32 v9, s25
	s_sub_u32 s6, 0, s24
	s_subb_u32 s7, 0, s25
	v_mac_f32_e32 v8, 0x4f800000, v9
	v_rcp_f32_e32 v8, v8
	v_mul_f32_e32 v8, 0x5f7ffffc, v8
	v_mul_f32_e32 v9, 0x2f800000, v8
	v_trunc_f32_e32 v9, v9
	v_mac_f32_e32 v8, 0xcf800000, v9
	v_cvt_u32_f32_e32 v9, v9
	v_cvt_u32_f32_e32 v8, v8
	v_mul_lo_u32 v24, s6, v9
	v_mul_hi_u32 v26, s6, v8
	v_mul_lo_u32 v25, s7, v8
	v_add_u32_e32 v24, v26, v24
	v_mul_lo_u32 v27, s6, v8
	v_add_u32_e32 v24, v24, v25
	v_mul_lo_u32 v26, v8, v24
	v_mul_hi_u32 v28, v8, v27
	v_mul_hi_u32 v25, v8, v24
	v_add_co_u32_e32 v26, vcc, v28, v26
	v_addc_co_u32_e32 v25, vcc, 0, v25, vcc
	v_mul_hi_u32 v29, v9, v27
	v_mul_lo_u32 v27, v9, v27
	v_add_co_u32_e32 v26, vcc, v26, v27
	v_mul_hi_u32 v28, v9, v24
	v_addc_co_u32_e32 v25, vcc, v25, v29, vcc
	v_addc_co_u32_e32 v26, vcc, 0, v28, vcc
	v_mul_lo_u32 v24, v9, v24
	v_add_co_u32_e32 v24, vcc, v25, v24
	v_addc_co_u32_e32 v25, vcc, 0, v26, vcc
	v_add_co_u32_e32 v8, vcc, v8, v24
	v_addc_co_u32_e32 v9, vcc, v9, v25, vcc
	v_mul_lo_u32 v24, s6, v9
	v_mul_hi_u32 v25, s6, v8
	v_add_u32_e32 v24, v25, v24
	v_mul_lo_u32 v25, s7, v8
	v_add_u32_e32 v24, v24, v25
	v_mul_lo_u32 v26, s6, v8
	v_mul_hi_u32 v27, v9, v26
	v_mul_lo_u32 v28, v9, v26
	v_mul_lo_u32 v30, v8, v24
	v_mul_hi_u32 v26, v8, v26
	v_mul_hi_u32 v29, v8, v24
	v_add_co_u32_e32 v26, vcc, v26, v30
	v_addc_co_u32_e32 v29, vcc, 0, v29, vcc
	v_add_co_u32_e32 v26, vcc, v26, v28
	v_mul_hi_u32 v25, v9, v24
	v_addc_co_u32_e32 v26, vcc, v29, v27, vcc
	v_addc_co_u32_e32 v25, vcc, 0, v25, vcc
	v_mul_lo_u32 v24, v9, v24
	v_add_co_u32_e32 v24, vcc, v26, v24
	v_addc_co_u32_e32 v25, vcc, 0, v25, vcc
	v_add_co_u32_e32 v8, vcc, v8, v24
	v_addc_co_u32_e32 v9, vcc, v9, v25, vcc
	v_ashrrev_i32_e32 v24, 31, v7
	v_add_co_u32_e32 v6, vcc, v6, v24
	v_addc_co_u32_e32 v7, vcc, v7, v24, vcc
	v_xor_b32_e32 v26, v6, v24
	v_xor_b32_e32 v25, v7, v24
	v_mad_u64_u32 v[6:7], s[6:7], v26, v9, 0
	v_mul_hi_u32 v27, v26, v8
	v_add_co_u32_e32 v27, vcc, v27, v6
	v_addc_co_u32_e32 v28, vcc, 0, v7, vcc
	v_mad_u64_u32 v[6:7], s[6:7], v25, v9, 0
	v_mad_u64_u32 v[8:9], s[6:7], v25, v8, 0
	v_add_co_u32_e32 v8, vcc, v27, v8
	v_addc_co_u32_e32 v8, vcc, v28, v9, vcc
	v_addc_co_u32_e32 v7, vcc, 0, v7, vcc
	v_add_co_u32_e32 v8, vcc, v8, v6
	v_addc_co_u32_e32 v6, vcc, 0, v7, vcc
	v_mul_lo_u32 v9, s25, v8
	v_mul_lo_u32 v27, s24, v6
	v_mad_u64_u32 v[6:7], s[6:7], s24, v8, 0
	v_add3_u32 v7, v7, v27, v9
	v_sub_u32_e32 v9, v25, v7
	v_mov_b32_e32 v27, s25
	v_sub_co_u32_e32 v6, vcc, v26, v6
	v_subb_co_u32_e64 v9, s[6:7], v9, v27, vcc
	v_subrev_co_u32_e64 v26, s[6:7], s24, v6
	v_subbrev_co_u32_e64 v9, s[6:7], 0, v9, s[6:7]
	v_cmp_le_u32_e64 s[6:7], s25, v9
	v_subb_co_u32_e32 v7, vcc, v25, v7, vcc
	v_cndmask_b32_e64 v27, 0, -1, s[6:7]
	v_cmp_le_u32_e64 s[6:7], s24, v26
	v_cmp_le_u32_e32 vcc, s25, v7
	v_cndmask_b32_e64 v26, 0, -1, s[6:7]
	v_cmp_eq_u32_e64 s[6:7], s25, v9
	v_cndmask_b32_e64 v25, 0, -1, vcc
	v_cmp_le_u32_e32 vcc, s24, v6
	v_cndmask_b32_e64 v9, v27, v26, s[6:7]
	v_cndmask_b32_e64 v6, 0, -1, vcc
	v_cmp_eq_u32_e32 vcc, s25, v7
	v_add_co_u32_e64 v26, s[6:7], 2, v8
	v_add_co_u32_e64 v27, s[6:7], 1, v8
	v_cndmask_b32_e32 v6, v25, v6, vcc
	v_cmp_ne_u32_e32 vcc, 0, v9
	v_cndmask_b32_e32 v7, v27, v26, vcc
	v_cmp_ne_u32_e32 vcc, 0, v6
	v_cndmask_b32_e32 v6, v8, v7, vcc
	v_xor_b32_e32 v7, s22, v24
	v_xor_b32_e32 v6, v6, v7
	v_sub_co_u32_e32 v8, vcc, v6, v7
                                        ; implicit-def: $vgpr24
                                        ; implicit-def: $vgpr6_vgpr7
	s_andn2_saveexec_b64 s[6:7], s[8:9]
	s_cbranch_execz .LBB5_33
.LBB5_35:                               ;   in Loop: Header=BB5_27 Depth=2
	v_rcp_iflag_f32_e32 v7, v24
	s_sub_i32 s8, 0, s30
	v_mul_f32_e32 v7, 0x4f7ffffe, v7
	v_cvt_u32_f32_e32 v7, v7
	v_mul_lo_u32 v8, s8, v7
	v_mul_hi_u32 v8, v7, v8
	v_add_u32_e32 v7, v7, v8
	v_mul_hi_u32 v7, v6, v7
	v_mul_lo_u32 v8, v7, s30
	v_sub_u32_e32 v6, v6, v8
	v_add_u32_e32 v9, 1, v7
	v_subrev_u32_e32 v8, s30, v6
	v_cmp_le_u32_e32 vcc, s30, v6
	v_cndmask_b32_e32 v6, v6, v8, vcc
	v_cndmask_b32_e32 v7, v7, v9, vcc
	v_add_u32_e32 v8, 1, v7
	v_cmp_le_u32_e32 vcc, s30, v6
	v_cndmask_b32_e32 v8, v7, v8, vcc
	s_or_b64 exec, exec, s[6:7]
	s_andn2_b64 vcc, exec, s[2:3]
	s_cbranch_vccnz .LBB5_26
.LBB5_36:                               ;   in Loop: Header=BB5_27 Depth=2
	v_lshlrev_b64 v[6:7], 2, v[0:1]
	v_add_co_u32_e32 v6, vcc, v21, v6
	v_addc_co_u32_e32 v7, vcc, v22, v7, vcc
	global_load_dword v9, v[6:7], off
	v_mad_i64_i32 v[4:5], s[6:7], v3, s10, v[4:5]
	v_sub_u32_e32 v3, v8, v4
	v_add_u32_e32 v5, 1, v3
	v_mov_b32_e32 v7, v4
	v_mov_b32_e32 v6, v1
	v_ashrrev_i64 v[6:7], 30, v[6:7]
	s_mov_b32 s42, 0
	s_waitcnt vmcnt(0)
	v_div_scale_f32 v3, s[6:7], v15, v15, v9
	v_rcp_f32_e32 v4, v3
	v_div_scale_f32 v8, vcc, v9, v15, v9
	v_fma_f32 v24, -v3, v4, 1.0
	v_fmac_f32_e32 v4, v24, v4
	v_mul_f32_e32 v24, v8, v4
	v_fma_f32 v25, -v3, v24, v8
	v_fmac_f32_e32 v24, v25, v4
	v_fma_f32 v3, -v3, v24, v8
	v_div_fmas_f32 v3, v3, v4, v24
	v_div_fixup_f32 v3, v3, v15, v9
	v_div_scale_f32 v4, s[6:7], v23, v23, v3
	v_rcp_f32_e32 v8, v4
	v_div_scale_f32 v24, vcc, v3, v23, v3
	v_cvt_f32_i32_e32 v9, v5
	v_fma_f32 v25, -v4, v8, 1.0
	v_fmac_f32_e32 v8, v25, v8
	v_mul_f32_e32 v25, v24, v8
	v_fma_f32 v26, -v4, v25, v24
	v_fmac_f32_e32 v25, v26, v8
	v_fma_f32 v4, -v4, v25, v24
	v_div_fmas_f32 v4, v4, v8, v25
	v_div_fixup_f32 v8, v4, v23, v3
	v_div_scale_f32 v24, s[6:7], v9, v9, v8
	v_rcp_f32_e32 v25, v24
	v_add_co_u32_e32 v4, vcc, v11, v6
	v_addc_co_u32_e32 v3, vcc, v20, v7, vcc
	v_fma_f32 v7, -v24, v25, 1.0
	v_div_scale_f32 v6, vcc, v8, v9, v8
	v_fmac_f32_e32 v25, v7, v25
	v_mul_f32_e32 v7, v6, v25
	v_fma_f32 v26, -v24, v7, v6
	v_fmac_f32_e32 v7, v26, v25
	v_fma_f32 v6, -v24, v7, v6
	v_div_fmas_f32 v6, v6, v25, v7
	v_div_fixup_f32 v6, v6, v9, v8
	v_cmp_lt_i32_e64 s[6:7], 0, v5
	s_branch .LBB5_38
.LBB5_37:                               ;   in Loop: Header=BB5_38 Depth=3
	s_or_b64 exec, exec, s[8:9]
	s_add_i32 s42, s42, 1
	v_mov_b32_e32 v7, s17
	v_cmp_ne_u32_e32 vcc, s42, v16
	v_add_co_u32_e64 v4, s[8:9], s16, v4
	v_addc_co_u32_e64 v3, s[8:9], v3, v7, s[8:9]
	s_cbranch_vccz .LBB5_26
.LBB5_38:                               ;   Parent Loop BB5_12 Depth=1
                                        ;     Parent Loop BB5_27 Depth=2
                                        ; =>    This Loop Header: Depth=3
                                        ;         Child Loop BB5_41 Depth 4
                                        ;           Child Loop BB5_43 Depth 5
	s_and_saveexec_b64 s[8:9], s[4:5]
	s_cbranch_execz .LBB5_37
; %bb.39:                               ;   in Loop: Header=BB5_38 Depth=3
	s_mov_b32 s43, 0
	s_mov_b64 s[22:23], 0
	s_mov_b32 s44, 0
	s_branch .LBB5_41
.LBB5_40:                               ;   in Loop: Header=BB5_41 Depth=4
	s_or_b64 exec, exec, s[24:25]
	s_add_i32 s44, s44, 1
	s_add_i32 s43, s43, s10
	v_cmp_ge_i32_e32 vcc, s44, v10
	s_or_b64 s[22:23], vcc, s[22:23]
	s_andn2_b64 exec, exec, s[22:23]
	s_cbranch_execz .LBB5_37
.LBB5_41:                               ;   Parent Loop BB5_12 Depth=1
                                        ;     Parent Loop BB5_27 Depth=2
                                        ;       Parent Loop BB5_38 Depth=3
                                        ; =>      This Loop Header: Depth=4
                                        ;           Child Loop BB5_43 Depth 5
	s_and_saveexec_b64 s[24:25], s[6:7]
	s_cbranch_execz .LBB5_40
; %bb.42:                               ;   in Loop: Header=BB5_41 Depth=4
	s_mov_b32 s45, 0
	s_mov_b64 s[26:27], 0
.LBB5_43:                               ;   Parent Loop BB5_12 Depth=1
                                        ;     Parent Loop BB5_27 Depth=2
                                        ;       Parent Loop BB5_38 Depth=3
                                        ;         Parent Loop BB5_41 Depth=4
                                        ; =>        This Inner Loop Header: Depth=5
	s_add_i32 s46, s43, s45
	s_ashr_i32 s47, s46, 31
	s_lshl_b64 s[46:47], s[46:47], 2
	v_mov_b32_e32 v7, s47
	v_add_co_u32_e32 v8, vcc, s46, v4
	v_addc_co_u32_e32 v9, vcc, v3, v7, vcc
	global_atomic_add_f32 v[8:9], v6, off
	s_add_i32 s45, s45, 1
	v_cmp_ge_i32_e32 vcc, s45, v5
	s_or_b64 s[26:27], vcc, s[26:27]
	s_andn2_b64 exec, exec, s[26:27]
	s_cbranch_execnz .LBB5_43
	s_branch .LBB5_40
.LBB5_44:
	s_endpgm
.LBB5_45:
                                        ; implicit-def: $sgpr16_sgpr17
	s_branch .LBB5_2
.LBB5_46:
                                        ; implicit-def: $vgpr4_vgpr5
	s_load_dword s17, s[4:5], 0x3c
	s_branch .LBB5_5
.LBB5_47:
                                        ; implicit-def: $vgpr6_vgpr7
	s_load_dword s34, s[4:5], 0x34
	s_andn2_b64 vcc, exec, s[18:19]
	s_cbranch_vccz .LBB5_9
	s_branch .LBB5_10
	.section	.rodata,"a",@progbits
	.p2align	6, 0x0
	.amdhsa_kernel _ZN2at6native12_GLOBAL__N_130atomicadaptiveaveragegradinputIfEEvPT_PKS3_iiiiiil
		.amdhsa_group_segment_fixed_size 0
		.amdhsa_private_segment_fixed_size 0
		.amdhsa_kernarg_size 304
		.amdhsa_user_sgpr_count 6
		.amdhsa_user_sgpr_private_segment_buffer 1
		.amdhsa_user_sgpr_dispatch_ptr 0
		.amdhsa_user_sgpr_queue_ptr 0
		.amdhsa_user_sgpr_kernarg_segment_ptr 1
		.amdhsa_user_sgpr_dispatch_id 0
		.amdhsa_user_sgpr_flat_scratch_init 0
		.amdhsa_user_sgpr_kernarg_preload_length 0
		.amdhsa_user_sgpr_kernarg_preload_offset 0
		.amdhsa_user_sgpr_private_segment_size 0
		.amdhsa_uses_dynamic_stack 0
		.amdhsa_system_sgpr_private_segment_wavefront_offset 0
		.amdhsa_system_sgpr_workgroup_id_x 1
		.amdhsa_system_sgpr_workgroup_id_y 1
		.amdhsa_system_sgpr_workgroup_id_z 0
		.amdhsa_system_sgpr_workgroup_info 0
		.amdhsa_system_vgpr_workitem_id 1
		.amdhsa_next_free_vgpr 31
		.amdhsa_next_free_sgpr 48
		.amdhsa_accum_offset 32
		.amdhsa_reserve_vcc 1
		.amdhsa_reserve_flat_scratch 0
		.amdhsa_float_round_mode_32 0
		.amdhsa_float_round_mode_16_64 0
		.amdhsa_float_denorm_mode_32 3
		.amdhsa_float_denorm_mode_16_64 3
		.amdhsa_dx10_clamp 1
		.amdhsa_ieee_mode 1
		.amdhsa_fp16_overflow 0
		.amdhsa_tg_split 0
		.amdhsa_exception_fp_ieee_invalid_op 0
		.amdhsa_exception_fp_denorm_src 0
		.amdhsa_exception_fp_ieee_div_zero 0
		.amdhsa_exception_fp_ieee_overflow 0
		.amdhsa_exception_fp_ieee_underflow 0
		.amdhsa_exception_fp_ieee_inexact 0
		.amdhsa_exception_int_div_zero 0
	.end_amdhsa_kernel
	.section	.text._ZN2at6native12_GLOBAL__N_130atomicadaptiveaveragegradinputIfEEvPT_PKS3_iiiiiil,"axG",@progbits,_ZN2at6native12_GLOBAL__N_130atomicadaptiveaveragegradinputIfEEvPT_PKS3_iiiiiil,comdat
.Lfunc_end5:
	.size	_ZN2at6native12_GLOBAL__N_130atomicadaptiveaveragegradinputIfEEvPT_PKS3_iiiiiil, .Lfunc_end5-_ZN2at6native12_GLOBAL__N_130atomicadaptiveaveragegradinputIfEEvPT_PKS3_iiiiiil
                                        ; -- End function
	.section	.AMDGPU.csdata,"",@progbits
; Kernel info:
; codeLenInByte = 6692
; NumSgprs: 52
; NumVgprs: 31
; NumAgprs: 0
; TotalNumVgprs: 31
; ScratchSize: 0
; MemoryBound: 0
; FloatMode: 240
; IeeeMode: 1
; LDSByteSize: 0 bytes/workgroup (compile time only)
; SGPRBlocks: 6
; VGPRBlocks: 3
; NumSGPRsForWavesPerEU: 52
; NumVGPRsForWavesPerEU: 31
; AccumOffset: 32
; Occupancy: 8
; WaveLimiterHint : 0
; COMPUTE_PGM_RSRC2:SCRATCH_EN: 0
; COMPUTE_PGM_RSRC2:USER_SGPR: 6
; COMPUTE_PGM_RSRC2:TRAP_HANDLER: 0
; COMPUTE_PGM_RSRC2:TGID_X_EN: 1
; COMPUTE_PGM_RSRC2:TGID_Y_EN: 1
; COMPUTE_PGM_RSRC2:TGID_Z_EN: 0
; COMPUTE_PGM_RSRC2:TIDIG_COMP_CNT: 1
; COMPUTE_PGM_RSRC3_GFX90A:ACCUM_OFFSET: 7
; COMPUTE_PGM_RSRC3_GFX90A:TG_SPLIT: 0
	.section	.text._ZN2at6native12_GLOBAL__N_130atomicadaptiveaveragegradinputIN3c104HalfEEEvPT_PKS5_iiiiiil,"axG",@progbits,_ZN2at6native12_GLOBAL__N_130atomicadaptiveaveragegradinputIN3c104HalfEEEvPT_PKS5_iiiiiil,comdat
	.globl	_ZN2at6native12_GLOBAL__N_130atomicadaptiveaveragegradinputIN3c104HalfEEEvPT_PKS5_iiiiiil ; -- Begin function _ZN2at6native12_GLOBAL__N_130atomicadaptiveaveragegradinputIN3c104HalfEEEvPT_PKS5_iiiiiil
	.p2align	8
	.type	_ZN2at6native12_GLOBAL__N_130atomicadaptiveaveragegradinputIN3c104HalfEEEvPT_PKS5_iiiiiil,@function
_ZN2at6native12_GLOBAL__N_130atomicadaptiveaveragegradinputIN3c104HalfEEEvPT_PKS5_iiiiiil: ; @_ZN2at6native12_GLOBAL__N_130atomicadaptiveaveragegradinputIN3c104HalfEEEvPT_PKS5_iiiiiil
; %bb.0:
	s_load_dwordx8 s[12:19], s[4:5], 0x10
	s_mov_b32 s0, 0
	s_waitcnt lgkmcnt(0)
	s_add_u32 s2, s6, s18
	s_addc_u32 s3, 0, s19
	s_ashr_i32 s9, s15, 31
	s_mov_b32 s8, s15
	s_or_b64 s[10:11], s[2:3], s[8:9]
	s_mov_b32 s1, s11
	s_cmp_lg_u64 s[0:1], 0
	s_cbranch_scc0 .LBB6_51
; %bb.1:
	s_add_u32 s0, s8, s9
	s_mov_b32 s10, s9
	s_mov_b32 s11, s9
	s_addc_u32 s1, s9, s9
	s_xor_b64 s[20:21], s[0:1], s[10:11]
	v_cvt_f32_u32_e32 v1, s20
	v_cvt_f32_u32_e32 v2, s21
	s_sub_u32 s0, 0, s20
	s_subb_u32 s1, 0, s21
	v_madmk_f32 v1, v2, 0x4f800000, v1
	v_rcp_f32_e32 v1, v1
	v_mul_f32_e32 v1, 0x5f7ffffc, v1
	v_mul_f32_e32 v2, 0x2f800000, v1
	v_trunc_f32_e32 v2, v2
	v_madmk_f32 v1, v2, 0xcf800000, v1
	v_cvt_u32_f32_e32 v2, v2
	v_cvt_u32_f32_e32 v1, v1
	v_readfirstlane_b32 s6, v2
	v_readfirstlane_b32 s15, v1
	s_mul_i32 s22, s0, s6
	s_mul_hi_u32 s24, s0, s15
	s_mul_i32 s23, s1, s15
	s_add_i32 s22, s24, s22
	s_add_i32 s22, s22, s23
	s_mul_i32 s25, s0, s15
	s_mul_hi_u32 s23, s15, s22
	s_mul_i32 s24, s15, s22
	s_mul_hi_u32 s15, s15, s25
	s_add_u32 s15, s15, s24
	s_addc_u32 s23, 0, s23
	s_mul_hi_u32 s26, s6, s25
	s_mul_i32 s25, s6, s25
	s_add_u32 s15, s15, s25
	s_mul_hi_u32 s24, s6, s22
	s_addc_u32 s15, s23, s26
	s_addc_u32 s23, s24, 0
	s_mul_i32 s22, s6, s22
	s_add_u32 s15, s15, s22
	s_addc_u32 s22, 0, s23
	v_add_co_u32_e32 v1, vcc, s15, v1
	s_cmp_lg_u64 vcc, 0
	s_addc_u32 s6, s6, s22
	v_readfirstlane_b32 s22, v1
	s_mul_i32 s15, s0, s6
	s_mul_hi_u32 s23, s0, s22
	s_add_i32 s15, s23, s15
	s_mul_i32 s1, s1, s22
	s_add_i32 s15, s15, s1
	s_mul_i32 s0, s0, s22
	s_mul_hi_u32 s23, s6, s0
	s_mul_i32 s24, s6, s0
	s_mul_i32 s26, s22, s15
	s_mul_hi_u32 s0, s22, s0
	s_mul_hi_u32 s25, s22, s15
	s_add_u32 s0, s0, s26
	s_addc_u32 s22, 0, s25
	s_add_u32 s0, s0, s24
	s_mul_hi_u32 s1, s6, s15
	s_addc_u32 s0, s22, s23
	s_addc_u32 s1, s1, 0
	s_mul_i32 s15, s6, s15
	s_add_u32 s0, s0, s15
	s_addc_u32 s1, 0, s1
	v_add_co_u32_e32 v1, vcc, s0, v1
	s_cmp_lg_u64 vcc, 0
	s_addc_u32 s6, s6, s1
	s_ashr_i32 s22, s3, 31
	s_add_u32 s0, s2, s22
	s_mov_b32 s23, s22
	s_addc_u32 s1, s3, s22
	s_xor_b64 s[24:25], s[0:1], s[22:23]
	v_readfirstlane_b32 s15, v1
	s_mul_i32 s1, s24, s6
	s_mul_hi_u32 s26, s24, s15
	s_mul_hi_u32 s0, s24, s6
	s_add_u32 s1, s26, s1
	s_addc_u32 s0, 0, s0
	s_mul_hi_u32 s27, s25, s15
	s_mul_i32 s15, s25, s15
	s_add_u32 s1, s1, s15
	s_mul_hi_u32 s26, s25, s6
	s_addc_u32 s0, s0, s27
	s_addc_u32 s1, s26, 0
	s_mul_i32 s6, s25, s6
	s_add_u32 s6, s0, s6
	s_addc_u32 s15, 0, s1
	s_mul_i32 s0, s20, s15
	s_mul_hi_u32 s1, s20, s6
	s_add_i32 s0, s1, s0
	s_mul_i32 s1, s21, s6
	s_add_i32 s26, s0, s1
	s_mul_i32 s1, s20, s6
	v_mov_b32_e32 v1, s1
	s_sub_i32 s0, s25, s26
	v_sub_co_u32_e32 v1, vcc, s24, v1
	s_cmp_lg_u64 vcc, 0
	s_subb_u32 s24, s0, s21
	v_subrev_co_u32_e64 v2, s[0:1], s20, v1
	s_cmp_lg_u64 s[0:1], 0
	s_subb_u32 s0, s24, 0
	s_cmp_ge_u32 s0, s21
	v_readfirstlane_b32 s24, v2
	s_cselect_b32 s1, -1, 0
	s_cmp_ge_u32 s24, s20
	s_cselect_b32 s24, -1, 0
	s_cmp_eq_u32 s0, s21
	s_cselect_b32 s0, s24, s1
	s_add_u32 s1, s6, 1
	s_addc_u32 s24, s15, 0
	s_add_u32 s27, s6, 2
	s_addc_u32 s28, s15, 0
	s_cmp_lg_u32 s0, 0
	s_cselect_b32 s0, s27, s1
	s_cselect_b32 s1, s28, s24
	s_cmp_lg_u64 vcc, 0
	s_subb_u32 s24, s25, s26
	s_cmp_ge_u32 s24, s21
	v_readfirstlane_b32 s26, v1
	s_cselect_b32 s25, -1, 0
	s_cmp_ge_u32 s26, s20
	s_cselect_b32 s20, -1, 0
	s_cmp_eq_u32 s24, s21
	s_cselect_b32 s20, s20, s25
	s_cmp_lg_u32 s20, 0
	s_cselect_b32 s1, s1, s15
	s_cselect_b32 s0, s0, s6
	s_xor_b64 s[10:11], s[22:23], s[10:11]
	s_xor_b64 s[0:1], s[0:1], s[10:11]
	s_sub_u32 s10, s0, s10
	s_subb_u32 s11, s1, s11
	s_cbranch_execnz .LBB6_3
.LBB6_2:
	v_cvt_f32_u32_e32 v1, s8
	s_sub_i32 s0, 0, s8
	s_mov_b32 s11, 0
	v_rcp_iflag_f32_e32 v1, v1
	v_mul_f32_e32 v1, 0x4f7ffffe, v1
	v_cvt_u32_f32_e32 v1, v1
	v_readfirstlane_b32 s1, v1
	s_mul_i32 s0, s0, s1
	s_mul_hi_u32 s0, s1, s0
	s_add_i32 s1, s1, s0
	s_mul_hi_u32 s0, s2, s1
	s_mul_i32 s6, s0, s8
	s_sub_i32 s6, s2, s6
	s_add_i32 s1, s0, 1
	s_sub_i32 s10, s6, s8
	s_cmp_ge_u32 s6, s8
	s_cselect_b32 s0, s1, s0
	s_cselect_b32 s6, s10, s6
	s_add_i32 s1, s0, 1
	s_cmp_ge_u32 s6, s8
	s_cselect_b32 s10, s1, s0
.LBB6_3:
	s_mul_i32 s0, s10, s9
	s_mul_hi_u32 s1, s10, s8
	s_add_i32 s0, s1, s0
	s_mul_i32 s1, s11, s8
	s_add_i32 s0, s0, s1
	s_mul_i32 s1, s10, s8
	s_sub_u32 s1, s2, s1
	s_subb_u32 s0, s3, s0
	s_ashr_i32 s6, s12, 31
	s_mul_i32 s11, s1, s6
	s_mul_hi_u32 s15, s1, s12
	s_add_i32 s11, s15, s11
	s_mul_i32 s0, s0, s12
	s_add_i32 s19, s11, s0
	s_mul_i32 s18, s1, s12
	s_or_b64 s[0:1], s[18:19], s[8:9]
	s_mov_b32 s0, 0
	s_cmp_lg_u64 s[0:1], 0
	s_mov_b32 s15, s12
	s_cbranch_scc0 .LBB6_52
; %bb.4:
	s_add_u32 s0, s8, s9
	s_mov_b32 s20, s9
	s_mov_b32 s21, s9
	s_addc_u32 s1, s9, s9
	s_xor_b64 s[24:25], s[0:1], s[20:21]
	v_cvt_f32_u32_e32 v1, s24
	v_cvt_f32_u32_e32 v2, s25
	s_sub_u32 s0, 0, s24
	s_subb_u32 s1, 0, s25
	v_madmk_f32 v1, v2, 0x4f800000, v1
	v_rcp_f32_e32 v1, v1
	v_mul_f32_e32 v1, 0x5f7ffffc, v1
	v_mul_f32_e32 v2, 0x2f800000, v1
	v_trunc_f32_e32 v2, v2
	v_madmk_f32 v1, v2, 0xcf800000, v1
	v_cvt_u32_f32_e32 v2, v2
	v_cvt_u32_f32_e32 v1, v1
	v_readfirstlane_b32 s11, v2
	v_readfirstlane_b32 s26, v1
	s_mul_i32 s27, s0, s11
	s_mul_hi_u32 s29, s0, s26
	s_mul_i32 s28, s1, s26
	s_add_i32 s27, s29, s27
	s_add_i32 s27, s27, s28
	s_mul_i32 s30, s0, s26
	s_mul_hi_u32 s28, s26, s27
	s_mul_i32 s29, s26, s27
	s_mul_hi_u32 s26, s26, s30
	s_add_u32 s26, s26, s29
	s_addc_u32 s28, 0, s28
	s_mul_hi_u32 s31, s11, s30
	s_mul_i32 s30, s11, s30
	s_add_u32 s26, s26, s30
	s_mul_hi_u32 s29, s11, s27
	s_addc_u32 s26, s28, s31
	s_addc_u32 s28, s29, 0
	s_mul_i32 s27, s11, s27
	s_add_u32 s26, s26, s27
	s_addc_u32 s27, 0, s28
	v_add_co_u32_e32 v1, vcc, s26, v1
	s_cmp_lg_u64 vcc, 0
	s_addc_u32 s11, s11, s27
	v_readfirstlane_b32 s27, v1
	s_mul_i32 s26, s0, s11
	s_mul_hi_u32 s28, s0, s27
	s_add_i32 s26, s28, s26
	s_mul_i32 s1, s1, s27
	s_add_i32 s26, s26, s1
	s_mul_i32 s0, s0, s27
	s_mul_hi_u32 s28, s11, s0
	s_mul_i32 s29, s11, s0
	s_mul_i32 s31, s27, s26
	s_mul_hi_u32 s0, s27, s0
	s_mul_hi_u32 s30, s27, s26
	s_add_u32 s0, s0, s31
	s_addc_u32 s27, 0, s30
	s_add_u32 s0, s0, s29
	s_mul_hi_u32 s1, s11, s26
	s_addc_u32 s0, s27, s28
	s_addc_u32 s1, s1, 0
	s_mul_i32 s26, s11, s26
	s_add_u32 s0, s0, s26
	s_addc_u32 s1, 0, s1
	v_add_co_u32_e32 v1, vcc, s0, v1
	s_cmp_lg_u64 vcc, 0
	s_addc_u32 s11, s11, s1
	s_ashr_i32 s26, s19, 31
	s_add_u32 s0, s18, s26
	s_mov_b32 s27, s26
	s_addc_u32 s1, s19, s26
	s_xor_b64 s[28:29], s[0:1], s[26:27]
	v_readfirstlane_b32 s30, v1
	s_mul_i32 s1, s28, s11
	s_mul_hi_u32 s31, s28, s30
	s_mul_hi_u32 s0, s28, s11
	s_add_u32 s1, s31, s1
	s_addc_u32 s0, 0, s0
	s_mul_hi_u32 s33, s29, s30
	s_mul_i32 s30, s29, s30
	s_add_u32 s1, s1, s30
	s_mul_hi_u32 s31, s29, s11
	s_addc_u32 s0, s0, s33
	s_addc_u32 s1, s31, 0
	s_mul_i32 s11, s29, s11
	s_add_u32 s11, s0, s11
	s_addc_u32 s0, 0, s1
	s_mul_i32 s0, s24, s0
	s_mul_hi_u32 s1, s24, s11
	s_add_i32 s0, s1, s0
	s_mul_i32 s1, s25, s11
	s_add_i32 s30, s0, s1
	s_mul_i32 s1, s24, s11
	v_mov_b32_e32 v1, s1
	s_sub_i32 s0, s29, s30
	v_sub_co_u32_e32 v1, vcc, s28, v1
	s_cmp_lg_u64 vcc, 0
	s_subb_u32 s28, s0, s25
	v_subrev_co_u32_e64 v2, s[0:1], s24, v1
	s_cmp_lg_u64 s[0:1], 0
	s_subb_u32 s28, s28, 0
	s_cmp_ge_u32 s28, s25
	s_cselect_b32 s31, -1, 0
	v_cmp_le_u32_e64 s[0:1], s24, v2
	s_cmp_eq_u32 s28, s25
	v_cndmask_b32_e64 v2, 0, -1, s[0:1]
	v_mov_b32_e32 v3, s31
	s_cselect_b64 s[0:1], -1, 0
	v_cndmask_b32_e64 v2, v3, v2, s[0:1]
	s_add_u32 s0, s11, 1
	s_add_u32 s1, s11, 2
	v_mov_b32_e32 v3, s0
	v_mov_b32_e32 v4, s1
	v_cmp_ne_u32_e64 s[0:1], 0, v2
	s_cmp_lg_u64 vcc, 0
	v_cndmask_b32_e64 v2, v3, v4, s[0:1]
	s_subb_u32 s0, s29, s30
	s_cmp_ge_u32 s0, s25
	s_cselect_b32 s1, -1, 0
	v_cmp_le_u32_e32 vcc, s24, v1
	s_cmp_eq_u32 s0, s25
	v_cndmask_b32_e64 v1, 0, -1, vcc
	v_mov_b32_e32 v3, s1
	s_cselect_b64 vcc, -1, 0
	v_cndmask_b32_e32 v1, v3, v1, vcc
	v_mov_b32_e32 v3, s11
	v_cmp_ne_u32_e32 vcc, 0, v1
	v_cndmask_b32_e32 v1, v3, v2, vcc
	s_xor_b64 s[0:1], s[26:27], s[20:21]
	v_xor_b32_e32 v1, s0, v1
	v_subrev_co_u32_e32 v4, vcc, s0, v1
	s_load_dword s11, s[4:5], 0x3c
	s_cbranch_execnz .LBB6_6
.LBB6_5:
	v_cvt_f32_u32_e32 v1, s8
	s_sub_i32 s0, 0, s8
	v_rcp_iflag_f32_e32 v1, v1
	v_mul_f32_e32 v1, 0x4f7ffffe, v1
	v_cvt_u32_f32_e32 v1, v1
	v_mul_lo_u32 v2, s0, v1
	v_mul_hi_u32 v2, v1, v2
	v_add_u32_e32 v1, v1, v2
	v_mul_hi_u32 v1, s18, v1
	v_mul_lo_u32 v3, v1, s8
	v_sub_u32_e32 v3, s18, v3
	v_add_u32_e32 v2, 1, v1
	v_subrev_u32_e32 v4, s8, v3
	v_cmp_le_u32_e32 vcc, s8, v3
	v_cndmask_b32_e32 v3, v3, v4, vcc
	v_cndmask_b32_e32 v1, v1, v2, vcc
	v_add_u32_e32 v2, 1, v1
	v_cmp_le_u32_e32 vcc, s8, v3
	v_cndmask_b32_e32 v4, v1, v2, vcc
.LBB6_6:
	s_waitcnt lgkmcnt(0)
	s_lshr_b32 s24, s11, 16
	s_mul_i32 s7, s7, s24
	v_bfe_u32 v1, v0, 10, 10
	v_add_u32_e32 v2, s7, v1
	v_cmp_gt_i32_e32 vcc, s16, v2
	s_and_saveexec_b64 s[0:1], vcc
	s_cbranch_execz .LBB6_50
; %bb.7:
	s_add_u32 s0, s18, s15
	s_addc_u32 s1, s19, s6
	s_add_u32 s6, s0, -1
	s_addc_u32 s7, s1, -1
	s_or_b64 s[0:1], s[6:7], s[8:9]
	s_mov_b32 s0, 0
	s_cmp_lg_u64 s[0:1], 0
	s_mov_b64 s[18:19], -1
	s_cbranch_scc0 .LBB6_53
; %bb.8:
	s_add_u32 s0, s8, s9
	s_mov_b32 s20, s9
	s_mov_b32 s21, s9
	s_addc_u32 s1, s9, s9
	s_xor_b64 s[22:23], s[0:1], s[20:21]
	v_cvt_f32_u32_e32 v1, s22
	v_cvt_f32_u32_e32 v3, s23
	s_sub_u32 s0, 0, s22
	s_subb_u32 s1, 0, s23
	v_madmk_f32 v1, v3, 0x4f800000, v1
	v_rcp_f32_e32 v1, v1
	v_mul_f32_e32 v1, 0x5f7ffffc, v1
	v_mul_f32_e32 v3, 0x2f800000, v1
	v_trunc_f32_e32 v3, v3
	v_madmk_f32 v1, v3, 0xcf800000, v1
	v_cvt_u32_f32_e32 v3, v3
	v_cvt_u32_f32_e32 v1, v1
	v_readfirstlane_b32 s9, v3
	v_readfirstlane_b32 s15, v1
	s_mul_i32 s25, s0, s9
	s_mul_hi_u32 s27, s0, s15
	s_mul_i32 s26, s1, s15
	s_add_i32 s25, s27, s25
	s_add_i32 s25, s25, s26
	s_mul_i32 s28, s0, s15
	s_mul_hi_u32 s26, s15, s25
	s_mul_i32 s27, s15, s25
	s_mul_hi_u32 s15, s15, s28
	s_add_u32 s15, s15, s27
	s_addc_u32 s26, 0, s26
	s_mul_hi_u32 s29, s9, s28
	s_mul_i32 s28, s9, s28
	s_add_u32 s15, s15, s28
	s_mul_hi_u32 s27, s9, s25
	s_addc_u32 s15, s26, s29
	s_addc_u32 s26, s27, 0
	s_mul_i32 s25, s9, s25
	s_add_u32 s15, s15, s25
	s_addc_u32 s25, 0, s26
	v_add_co_u32_e32 v1, vcc, s15, v1
	s_cmp_lg_u64 vcc, 0
	s_addc_u32 s9, s9, s25
	v_readfirstlane_b32 s25, v1
	s_mul_i32 s15, s0, s9
	s_mul_hi_u32 s26, s0, s25
	s_add_i32 s15, s26, s15
	s_mul_i32 s1, s1, s25
	s_add_i32 s15, s15, s1
	s_mul_i32 s0, s0, s25
	s_mul_hi_u32 s26, s9, s0
	s_mul_i32 s27, s9, s0
	s_mul_i32 s29, s25, s15
	s_mul_hi_u32 s0, s25, s0
	s_mul_hi_u32 s28, s25, s15
	s_add_u32 s0, s0, s29
	s_addc_u32 s25, 0, s28
	s_add_u32 s0, s0, s27
	s_mul_hi_u32 s1, s9, s15
	s_addc_u32 s0, s25, s26
	s_addc_u32 s1, s1, 0
	s_mul_i32 s15, s9, s15
	s_add_u32 s0, s0, s15
	s_addc_u32 s1, 0, s1
	v_add_co_u32_e32 v1, vcc, s0, v1
	s_cmp_lg_u64 vcc, 0
	s_addc_u32 s9, s9, s1
	s_ashr_i32 s26, s7, 31
	s_add_u32 s0, s6, s26
	s_mov_b32 s27, s26
	s_addc_u32 s1, s7, s26
	s_xor_b64 s[28:29], s[0:1], s[26:27]
	v_readfirstlane_b32 s7, v1
	s_mul_i32 s1, s28, s9
	s_mul_hi_u32 s15, s28, s7
	s_mul_hi_u32 s0, s28, s9
	s_add_u32 s1, s15, s1
	s_addc_u32 s0, 0, s0
	s_mul_hi_u32 s25, s29, s7
	s_mul_i32 s7, s29, s7
	s_add_u32 s1, s1, s7
	s_mul_hi_u32 s15, s29, s9
	s_addc_u32 s0, s0, s25
	s_addc_u32 s1, s15, 0
	s_mul_i32 s7, s29, s9
	s_add_u32 s7, s0, s7
	s_addc_u32 s0, 0, s1
	s_mul_i32 s0, s22, s0
	s_mul_hi_u32 s1, s22, s7
	s_add_i32 s0, s1, s0
	s_mul_i32 s1, s23, s7
	s_add_i32 s9, s0, s1
	s_mul_i32 s1, s22, s7
	v_mov_b32_e32 v1, s1
	s_sub_i32 s0, s29, s9
	v_sub_co_u32_e32 v1, vcc, s28, v1
	s_cmp_lg_u64 vcc, 0
	s_subb_u32 s15, s0, s23
	v_subrev_co_u32_e64 v3, s[0:1], s22, v1
	s_cmp_lg_u64 s[0:1], 0
	s_subb_u32 s15, s15, 0
	s_cmp_ge_u32 s15, s23
	s_cselect_b32 s25, -1, 0
	v_cmp_le_u32_e64 s[0:1], s22, v3
	s_cmp_eq_u32 s15, s23
	v_cndmask_b32_e64 v3, 0, -1, s[0:1]
	v_mov_b32_e32 v5, s25
	s_cselect_b64 s[0:1], -1, 0
	v_cndmask_b32_e64 v3, v5, v3, s[0:1]
	s_add_u32 s0, s7, 1
	s_add_u32 s1, s7, 2
	v_mov_b32_e32 v5, s0
	v_mov_b32_e32 v6, s1
	v_cmp_ne_u32_e64 s[0:1], 0, v3
	s_cmp_lg_u64 vcc, 0
	v_cndmask_b32_e64 v3, v5, v6, s[0:1]
	s_subb_u32 s0, s29, s9
	s_cmp_ge_u32 s0, s23
	s_cselect_b32 s1, -1, 0
	v_cmp_le_u32_e32 vcc, s22, v1
	s_cmp_eq_u32 s0, s23
	v_cndmask_b32_e64 v1, 0, -1, vcc
	v_mov_b32_e32 v5, s1
	s_cselect_b64 vcc, -1, 0
	v_cndmask_b32_e32 v1, v5, v1, vcc
	v_mov_b32_e32 v5, s7
	v_cmp_ne_u32_e32 vcc, 0, v1
	v_cndmask_b32_e32 v1, v5, v3, vcc
	s_xor_b64 s[0:1], s[26:27], s[20:21]
	v_xor_b32_e32 v1, s0, v1
	v_subrev_co_u32_e32 v6, vcc, s0, v1
	s_load_dword s40, s[4:5], 0x34
	s_cbranch_execnz .LBB6_10
.LBB6_9:
	v_cvt_f32_u32_e32 v1, s8
	s_sub_i32 s0, 0, s8
	v_rcp_iflag_f32_e32 v1, v1
	v_mul_f32_e32 v1, 0x4f7ffffe, v1
	v_cvt_u32_f32_e32 v1, v1
	v_mul_lo_u32 v3, s0, v1
	v_mul_hi_u32 v3, v1, v3
	v_add_u32_e32 v1, v1, v3
	v_mul_hi_u32 v1, s6, v1
	v_mul_lo_u32 v5, v1, s8
	v_sub_u32_e32 v5, s6, v5
	v_add_u32_e32 v3, 1, v1
	v_subrev_u32_e32 v6, s8, v5
	v_cmp_le_u32_e32 vcc, s8, v5
	v_cndmask_b32_e32 v5, v5, v6, vcc
	v_cndmask_b32_e32 v1, v1, v3, vcc
	v_add_u32_e32 v3, 1, v1
	v_cmp_le_u32_e32 vcc, s8, v5
	v_cndmask_b32_e32 v6, v1, v3, vcc
.LBB6_10:
	s_load_dwordx4 s[20:23], s[4:5], 0x0
	s_mul_i32 s0, s10, s12
	s_mul_i32 s5, s17, s16
	v_add_u32_e32 v1, s0, v4
	s_mul_i32 s4, s14, s13
	s_mul_hi_i32 s0, s17, s16
	s_mul_i32 s1, s5, s3
	s_mul_hi_u32 s3, s5, s2
	v_mul_lo_u32 v8, s4, v1
	s_add_i32 s1, s3, s1
	s_mul_i32 s0, s0, s2
	v_ashrrev_i32_e32 v9, 31, v8
	s_add_i32 s1, s1, s0
	s_mul_i32 s0, s5, s2
	v_lshlrev_b64 v[8:9], 1, v[8:9]
	s_ashr_i32 s15, s16, 31
	s_ashr_i32 s36, s17, 31
	s_lshl_b64 s[0:1], s[0:1], 1
	s_waitcnt lgkmcnt(0)
	v_mov_b32_e32 v1, s21
	v_add_co_u32_e32 v12, vcc, s20, v8
	s_add_u32 s38, s22, s0
	v_and_b32_e32 v14, 0x3ff, v0
	v_sub_u32_e32 v0, v6, v4
	v_addc_co_u32_e32 v13, vcc, v1, v9, vcc
	s_addc_u32 s39, s23, s1
	v_add_u32_e32 v1, 1, v0
	s_abs_i32 s44, s17
	v_cvt_f32_i32_e32 v3, v1
	v_cvt_f32_u32_e32 v4, s44
	s_brev_b32 s2, -2
	v_cmp_gt_u32_e64 s[2:3], s2, v0
	v_cvt_f16_f32_e32 v15, v3
	v_rcp_iflag_f32_e32 v3, v4
	s_ashr_i32 s46, s16, 31
	s_add_i32 s6, s16, s46
	s_xor_b32 s47, s6, s46
	v_mul_f32_e32 v0, 0x4f7ffffe, v3
	v_cvt_u32_f32_e32 v0, v0
	s_sub_i32 s6, 0, s44
	v_max_i32_e32 v16, 1, v1
	v_cvt_f32_u32_e32 v1, s47
	v_mul_lo_u32 v3, s6, v0
	s_mov_b32 s33, s16
	v_mul_hi_u32 v3, v0, v3
	v_add_u32_e32 v17, v0, v3
	v_cvt_f32_u32_e32 v0, s33
	v_rcp_iflag_f32_e32 v4, v1
	s_sub_i32 s6, 0, s47
	s_ashr_i32 s5, s4, 31
	v_rcp_iflag_f32_e32 v0, v0
	v_mul_f32_e32 v3, 0x4f7ffffe, v4
	v_cvt_u32_f32_e32 v3, v3
	s_mov_b32 s37, s17
	v_mul_f32_e32 v0, 0x4f7ffffe, v0
	v_cvt_u32_f32_e32 v0, v0
	v_mul_lo_u32 v4, s6, v3
	v_mul_hi_u32 v4, v3, v4
	s_sub_i32 s6, 0, s16
	v_add_u32_e32 v18, v3, v4
	v_mul_lo_u32 v3, s6, v0
	v_mul_hi_u32 v3, v0, v3
	s_mul_i32 s40, s40, s24
	s_and_b32 s41, s11, 0xffff
	s_ashr_i32 s42, s13, 31
	s_mov_b32 s43, s13
	v_cmp_gt_i32_e64 s[0:1], s17, v14
	s_ashr_i32 s45, s14, 31
	v_mov_b32_e32 v1, 0
	s_mov_b64 s[12:13], 0
	v_add_u32_e32 v19, v0, v3
	s_mov_b32 s48, 0xffff0000
	s_lshl_b64 s[18:19], s[4:5], 1
	s_branch .LBB6_12
.LBB6_11:                               ;   in Loop: Header=BB6_12 Depth=1
	s_or_b64 exec, exec, s[20:21]
	v_add_u32_e32 v2, s40, v2
	v_cmp_le_i32_e32 vcc, s16, v2
	s_or_b64 s[12:13], vcc, s[12:13]
	s_andn2_b64 exec, exec, s[12:13]
	s_cbranch_execz .LBB6_50
.LBB6_12:                               ; =>This Loop Header: Depth=1
                                        ;     Child Loop BB6_27 Depth 2
                                        ;       Child Loop BB6_38 Depth 3
                                        ;         Child Loop BB6_41 Depth 4
                                        ;           Child Loop BB6_44 Depth 5
                                        ;             Child Loop BB6_46 Depth 6
	v_ashrrev_i32_e32 v3, 31, v2
	v_or_b32_e32 v5, s15, v3
	v_mov_b32_e32 v4, v1
	v_cmp_ne_u64_e32 vcc, 0, v[4:5]
                                        ; implicit-def: $vgpr4_vgpr5
	s_and_saveexec_b64 s[4:5], vcc
	s_xor_b64 s[4:5], exec, s[4:5]
	s_cbranch_execz .LBB6_14
; %bb.13:                               ;   in Loop: Header=BB6_12 Depth=1
	v_ashrrev_i32_e32 v0, 31, v2
	v_add_u32_e32 v4, v2, v0
	v_xor_b32_e32 v4, v4, v0
	v_mul_hi_u32 v5, v4, v18
	v_mul_lo_u32 v6, v5, s47
	v_sub_u32_e32 v4, v4, v6
	v_subrev_u32_e32 v6, s47, v4
	v_cmp_le_u32_e32 vcc, s47, v4
	v_cndmask_b32_e32 v4, v4, v6, vcc
	v_add_u32_e32 v6, 1, v5
	v_cndmask_b32_e32 v5, v5, v6, vcc
	v_add_u32_e32 v6, 1, v5
	v_cmp_le_u32_e32 vcc, s47, v4
	v_cndmask_b32_e32 v4, v5, v6, vcc
	v_xor_b32_e32 v0, s46, v0
	v_xor_b32_e32 v4, v4, v0
	v_sub_u32_e32 v4, v4, v0
	v_ashrrev_i32_e32 v5, 31, v4
.LBB6_14:                               ;   in Loop: Header=BB6_12 Depth=1
	s_andn2_saveexec_b64 s[4:5], s[4:5]
	s_cbranch_execz .LBB6_16
; %bb.15:                               ;   in Loop: Header=BB6_12 Depth=1
	v_mul_hi_u32 v0, v2, v19
	v_mul_lo_u32 v4, v0, s33
	v_sub_u32_e32 v4, v2, v4
	v_subrev_u32_e32 v5, s33, v4
	v_cmp_le_u32_e32 vcc, s33, v4
	v_cndmask_b32_e32 v4, v4, v5, vcc
	v_add_u32_e32 v5, 1, v0
	v_cndmask_b32_e32 v0, v0, v5, vcc
	v_add_u32_e32 v5, 1, v0
	v_cmp_le_u32_e32 vcc, s33, v4
	v_cndmask_b32_e32 v0, v0, v5, vcc
	v_pk_mov_b32 v[4:5], v[0:1], v[0:1] op_sel:[0,1]
.LBB6_16:                               ;   in Loop: Header=BB6_12 Depth=1
	s_or_b64 exec, exec, s[4:5]
	v_mul_lo_u32 v0, v5, s33
	v_mul_lo_u32 v5, v4, s15
	v_mad_u64_u32 v[6:7], s[4:5], v4, s33, 0
	v_add3_u32 v0, v7, v5, v0
	v_sub_co_u32_e32 v5, vcc, v2, v6
	v_subb_co_u32_e32 v0, vcc, v3, v0, vcc
	v_mul_lo_u32 v0, v0, s43
	v_mul_lo_u32 v6, v5, s42
	v_mad_u64_u32 v[8:9], s[4:5], v5, s43, 0
	v_add3_u32 v9, v9, v6, v0
	v_or_b32_e32 v7, s15, v9
	v_mov_b32_e32 v6, v1
	v_cmp_ne_u64_e32 vcc, 0, v[6:7]
                                        ; implicit-def: $vgpr6_vgpr7
	s_and_saveexec_b64 s[4:5], vcc
	s_xor_b64 s[6:7], exec, s[4:5]
	s_cbranch_execz .LBB6_18
; %bb.17:                               ;   in Loop: Header=BB6_12 Depth=1
	s_add_u32 s4, s33, s15
	s_mov_b32 s8, s15
	s_mov_b32 s9, s15
	s_addc_u32 s5, s15, s15
	s_xor_b64 s[10:11], s[4:5], s[8:9]
	v_cvt_f32_u32_e32 v0, s10
	v_cvt_f32_u32_e32 v5, s11
	s_sub_u32 s4, 0, s10
	s_subb_u32 s5, 0, s11
	v_mac_f32_e32 v0, 0x4f800000, v5
	v_rcp_f32_e32 v0, v0
	v_mul_f32_e32 v0, 0x5f7ffffc, v0
	v_mul_f32_e32 v5, 0x2f800000, v0
	v_trunc_f32_e32 v5, v5
	v_mac_f32_e32 v0, 0xcf800000, v5
	v_cvt_u32_f32_e32 v5, v5
	v_cvt_u32_f32_e32 v0, v0
	v_mul_lo_u32 v6, s4, v5
	v_mul_hi_u32 v10, s4, v0
	v_mul_lo_u32 v7, s5, v0
	v_add_u32_e32 v6, v10, v6
	v_mul_lo_u32 v11, s4, v0
	v_add_u32_e32 v6, v6, v7
	v_mul_lo_u32 v10, v0, v6
	v_mul_hi_u32 v20, v0, v11
	v_mul_hi_u32 v7, v0, v6
	v_add_co_u32_e32 v10, vcc, v20, v10
	v_addc_co_u32_e32 v7, vcc, 0, v7, vcc
	v_mul_hi_u32 v21, v5, v11
	v_mul_lo_u32 v11, v5, v11
	v_add_co_u32_e32 v10, vcc, v10, v11
	v_mul_hi_u32 v20, v5, v6
	v_addc_co_u32_e32 v7, vcc, v7, v21, vcc
	v_addc_co_u32_e32 v10, vcc, 0, v20, vcc
	v_mul_lo_u32 v6, v5, v6
	v_add_co_u32_e32 v6, vcc, v7, v6
	v_addc_co_u32_e32 v7, vcc, 0, v10, vcc
	v_add_co_u32_e32 v0, vcc, v0, v6
	v_addc_co_u32_e32 v5, vcc, v5, v7, vcc
	v_mul_lo_u32 v6, s4, v5
	v_mul_hi_u32 v7, s4, v0
	v_add_u32_e32 v6, v7, v6
	v_mul_lo_u32 v7, s5, v0
	v_add_u32_e32 v6, v6, v7
	v_mul_lo_u32 v10, s4, v0
	v_mul_hi_u32 v11, v5, v10
	v_mul_lo_u32 v20, v5, v10
	v_mul_lo_u32 v22, v0, v6
	v_mul_hi_u32 v10, v0, v10
	v_mul_hi_u32 v21, v0, v6
	v_add_co_u32_e32 v10, vcc, v10, v22
	v_addc_co_u32_e32 v21, vcc, 0, v21, vcc
	v_add_co_u32_e32 v10, vcc, v10, v20
	v_mul_hi_u32 v7, v5, v6
	v_addc_co_u32_e32 v10, vcc, v21, v11, vcc
	v_addc_co_u32_e32 v7, vcc, 0, v7, vcc
	v_mul_lo_u32 v6, v5, v6
	v_add_co_u32_e32 v6, vcc, v10, v6
	v_addc_co_u32_e32 v7, vcc, 0, v7, vcc
	v_add_co_u32_e32 v0, vcc, v0, v6
	v_addc_co_u32_e32 v5, vcc, v5, v7, vcc
	v_ashrrev_i32_e32 v10, 31, v9
	v_add_co_u32_e32 v6, vcc, v8, v10
	v_addc_co_u32_e32 v7, vcc, v9, v10, vcc
	v_xor_b32_e32 v20, v6, v10
	v_xor_b32_e32 v11, v7, v10
	v_mad_u64_u32 v[6:7], s[4:5], v20, v5, 0
	v_mul_hi_u32 v8, v20, v0
	v_add_co_u32_e32 v21, vcc, v8, v6
	v_addc_co_u32_e32 v22, vcc, 0, v7, vcc
	v_mad_u64_u32 v[8:9], s[4:5], v11, v0, 0
	v_add_co_u32_e32 v0, vcc, v21, v8
	v_mad_u64_u32 v[6:7], s[4:5], v11, v5, 0
	v_addc_co_u32_e32 v0, vcc, v22, v9, vcc
	v_addc_co_u32_e32 v5, vcc, 0, v7, vcc
	v_add_co_u32_e32 v0, vcc, v0, v6
	v_addc_co_u32_e32 v5, vcc, 0, v5, vcc
	v_mul_lo_u32 v8, s11, v0
	v_mul_lo_u32 v5, s10, v5
	v_mad_u64_u32 v[6:7], s[4:5], s10, v0, 0
	v_add3_u32 v5, v7, v5, v8
	v_sub_u32_e32 v7, v11, v5
	v_mov_b32_e32 v8, s11
	v_sub_co_u32_e32 v6, vcc, v20, v6
	v_subb_co_u32_e64 v7, s[4:5], v7, v8, vcc
	v_subrev_co_u32_e64 v8, s[4:5], s10, v6
	v_subbrev_co_u32_e64 v7, s[4:5], 0, v7, s[4:5]
	v_cmp_le_u32_e64 s[4:5], s11, v7
	v_subb_co_u32_e32 v5, vcc, v11, v5, vcc
	v_cndmask_b32_e64 v9, 0, -1, s[4:5]
	v_cmp_le_u32_e64 s[4:5], s10, v8
	v_cmp_le_u32_e32 vcc, s11, v5
	v_cndmask_b32_e64 v8, 0, -1, s[4:5]
	v_cmp_eq_u32_e64 s[4:5], s11, v7
	v_cndmask_b32_e64 v11, 0, -1, vcc
	v_cmp_le_u32_e32 vcc, s10, v6
	v_cndmask_b32_e64 v7, v9, v8, s[4:5]
	v_cndmask_b32_e64 v6, 0, -1, vcc
	v_cmp_eq_u32_e32 vcc, s11, v5
	v_add_co_u32_e64 v8, s[4:5], 2, v0
	v_add_co_u32_e64 v9, s[4:5], 1, v0
	v_cndmask_b32_e32 v5, v11, v6, vcc
	v_cmp_ne_u32_e32 vcc, 0, v7
	v_cndmask_b32_e32 v6, v9, v8, vcc
	v_cmp_ne_u32_e32 vcc, 0, v5
	v_cndmask_b32_e32 v0, v0, v6, vcc
	v_xor_b32_e32 v5, s8, v10
	v_xor_b32_e32 v0, v0, v5
	v_sub_co_u32_e32 v6, vcc, v0, v5
                                        ; implicit-def: $vgpr8_vgpr9
.LBB6_18:                               ;   in Loop: Header=BB6_12 Depth=1
	s_andn2_saveexec_b64 s[4:5], s[6:7]
; %bb.19:                               ;   in Loop: Header=BB6_12 Depth=1
	v_mul_hi_u32 v0, v8, v19
	v_mul_lo_u32 v5, v0, s33
	v_sub_u32_e32 v5, v8, v5
	v_subrev_u32_e32 v6, s33, v5
	v_cmp_le_u32_e32 vcc, s33, v5
	v_cndmask_b32_e32 v5, v5, v6, vcc
	v_add_u32_e32 v6, 1, v0
	v_cndmask_b32_e32 v0, v0, v6, vcc
	v_add_u32_e32 v6, 1, v0
	v_cmp_le_u32_e32 vcc, s33, v5
	v_cndmask_b32_e32 v6, v0, v6, vcc
; %bb.20:                               ;   in Loop: Header=BB6_12 Depth=1
	s_or_b64 exec, exec, s[4:5]
	v_add_co_u32_e32 v0, vcc, 1, v2
	v_addc_co_u32_e32 v3, vcc, 0, v3, vcc
	v_mul_lo_u32 v5, v0, s42
	v_mul_lo_u32 v3, v3, s43
	v_mad_u64_u32 v[8:9], s[4:5], v0, s43, -1
	v_add3_u32 v9, v3, v9, v5
	v_or_b32_e32 v11, s15, v9
	v_mov_b32_e32 v10, v1
	v_cmp_ne_u64_e32 vcc, 0, v[10:11]
                                        ; implicit-def: $vgpr10_vgpr11
	s_and_saveexec_b64 s[4:5], vcc
	s_xor_b64 s[6:7], exec, s[4:5]
	s_cbranch_execnz .LBB6_23
; %bb.21:                               ;   in Loop: Header=BB6_12 Depth=1
	s_andn2_saveexec_b64 s[4:5], s[6:7]
	s_cbranch_execnz .LBB6_24
.LBB6_22:                               ;   in Loop: Header=BB6_12 Depth=1
	s_or_b64 exec, exec, s[4:5]
	s_and_saveexec_b64 s[20:21], s[0:1]
	s_cbranch_execz .LBB6_11
	s_branch .LBB6_25
.LBB6_23:                               ;   in Loop: Header=BB6_12 Depth=1
	s_add_u32 s4, s33, s15
	s_mov_b32 s8, s15
	s_mov_b32 s9, s15
	s_addc_u32 s5, s15, s15
	s_xor_b64 s[10:11], s[4:5], s[8:9]
	v_cvt_f32_u32_e32 v0, s10
	v_cvt_f32_u32_e32 v3, s11
	s_sub_u32 s4, 0, s10
	s_subb_u32 s5, 0, s11
	v_mac_f32_e32 v0, 0x4f800000, v3
	v_rcp_f32_e32 v0, v0
	v_mul_f32_e32 v0, 0x5f7ffffc, v0
	v_mul_f32_e32 v3, 0x2f800000, v0
	v_trunc_f32_e32 v3, v3
	v_mac_f32_e32 v0, 0xcf800000, v3
	v_cvt_u32_f32_e32 v3, v3
	v_cvt_u32_f32_e32 v0, v0
	v_mul_lo_u32 v5, s4, v3
	v_mul_hi_u32 v10, s4, v0
	v_mul_lo_u32 v7, s5, v0
	v_add_u32_e32 v5, v10, v5
	v_mul_lo_u32 v11, s4, v0
	v_add_u32_e32 v5, v5, v7
	v_mul_lo_u32 v10, v0, v5
	v_mul_hi_u32 v20, v0, v11
	v_mul_hi_u32 v7, v0, v5
	v_add_co_u32_e32 v10, vcc, v20, v10
	v_addc_co_u32_e32 v7, vcc, 0, v7, vcc
	v_mul_hi_u32 v21, v3, v11
	v_mul_lo_u32 v11, v3, v11
	v_add_co_u32_e32 v10, vcc, v10, v11
	v_mul_hi_u32 v20, v3, v5
	v_addc_co_u32_e32 v7, vcc, v7, v21, vcc
	v_addc_co_u32_e32 v10, vcc, 0, v20, vcc
	v_mul_lo_u32 v5, v3, v5
	v_add_co_u32_e32 v5, vcc, v7, v5
	v_addc_co_u32_e32 v7, vcc, 0, v10, vcc
	v_add_co_u32_e32 v0, vcc, v0, v5
	v_addc_co_u32_e32 v3, vcc, v3, v7, vcc
	v_mul_lo_u32 v5, s4, v3
	v_mul_hi_u32 v7, s4, v0
	v_add_u32_e32 v5, v7, v5
	v_mul_lo_u32 v7, s5, v0
	v_add_u32_e32 v5, v5, v7
	v_mul_lo_u32 v10, s4, v0
	v_mul_hi_u32 v11, v3, v10
	v_mul_lo_u32 v20, v3, v10
	v_mul_lo_u32 v22, v0, v5
	v_mul_hi_u32 v10, v0, v10
	v_mul_hi_u32 v21, v0, v5
	v_add_co_u32_e32 v10, vcc, v10, v22
	v_addc_co_u32_e32 v21, vcc, 0, v21, vcc
	v_add_co_u32_e32 v10, vcc, v10, v20
	v_mul_hi_u32 v7, v3, v5
	v_addc_co_u32_e32 v10, vcc, v21, v11, vcc
	v_addc_co_u32_e32 v7, vcc, 0, v7, vcc
	v_mul_lo_u32 v5, v3, v5
	v_add_co_u32_e32 v5, vcc, v10, v5
	v_addc_co_u32_e32 v7, vcc, 0, v7, vcc
	v_add_co_u32_e32 v0, vcc, v0, v5
	v_addc_co_u32_e32 v3, vcc, v3, v7, vcc
	v_ashrrev_i32_e32 v5, 31, v9
	v_add_co_u32_e32 v7, vcc, v8, v5
	v_addc_co_u32_e32 v8, vcc, v9, v5, vcc
	v_xor_b32_e32 v7, v7, v5
	v_xor_b32_e32 v20, v8, v5
	v_mad_u64_u32 v[8:9], s[4:5], v7, v3, 0
	v_mul_hi_u32 v10, v7, v0
	v_add_co_u32_e32 v21, vcc, v10, v8
	v_addc_co_u32_e32 v22, vcc, 0, v9, vcc
	v_mad_u64_u32 v[10:11], s[4:5], v20, v0, 0
	v_add_co_u32_e32 v0, vcc, v21, v10
	v_mad_u64_u32 v[8:9], s[4:5], v20, v3, 0
	v_addc_co_u32_e32 v0, vcc, v22, v11, vcc
	v_addc_co_u32_e32 v3, vcc, 0, v9, vcc
	v_add_co_u32_e32 v0, vcc, v0, v8
	v_addc_co_u32_e32 v3, vcc, 0, v3, vcc
	v_mul_lo_u32 v10, s11, v0
	v_mul_lo_u32 v3, s10, v3
	v_mad_u64_u32 v[8:9], s[4:5], s10, v0, 0
	v_add3_u32 v3, v9, v3, v10
	v_sub_u32_e32 v9, v20, v3
	v_mov_b32_e32 v10, s11
	v_sub_co_u32_e32 v7, vcc, v7, v8
	v_subb_co_u32_e64 v8, s[4:5], v9, v10, vcc
	v_subrev_co_u32_e64 v9, s[4:5], s10, v7
	v_subbrev_co_u32_e64 v8, s[4:5], 0, v8, s[4:5]
	v_cmp_le_u32_e64 s[4:5], s11, v8
	v_subb_co_u32_e32 v3, vcc, v20, v3, vcc
	v_cndmask_b32_e64 v10, 0, -1, s[4:5]
	v_cmp_le_u32_e64 s[4:5], s10, v9
	v_cmp_le_u32_e32 vcc, s11, v3
	v_cndmask_b32_e64 v9, 0, -1, s[4:5]
	v_cmp_eq_u32_e64 s[4:5], s11, v8
	v_cndmask_b32_e64 v11, 0, -1, vcc
	v_cmp_le_u32_e32 vcc, s10, v7
	v_cndmask_b32_e64 v8, v10, v9, s[4:5]
	v_cndmask_b32_e64 v7, 0, -1, vcc
	v_cmp_eq_u32_e32 vcc, s11, v3
	v_add_co_u32_e64 v9, s[4:5], 2, v0
	v_add_co_u32_e64 v10, s[4:5], 1, v0
	v_cndmask_b32_e32 v3, v11, v7, vcc
	v_cmp_ne_u32_e32 vcc, 0, v8
	v_cndmask_b32_e32 v7, v10, v9, vcc
	v_cmp_ne_u32_e32 vcc, 0, v3
	v_cndmask_b32_e32 v0, v0, v7, vcc
	v_xor_b32_e32 v3, s8, v5
	v_xor_b32_e32 v0, v0, v3
	v_sub_co_u32_e32 v10, vcc, v0, v3
                                        ; implicit-def: $vgpr8_vgpr9
	s_andn2_saveexec_b64 s[4:5], s[6:7]
	s_cbranch_execz .LBB6_22
.LBB6_24:                               ;   in Loop: Header=BB6_12 Depth=1
	v_mul_hi_u32 v0, v8, v19
	v_mul_lo_u32 v3, v0, s33
	v_sub_u32_e32 v3, v8, v3
	v_subrev_u32_e32 v5, s33, v3
	v_cmp_le_u32_e32 vcc, s33, v3
	v_cndmask_b32_e32 v3, v3, v5, vcc
	v_add_u32_e32 v5, 1, v0
	v_cndmask_b32_e32 v0, v0, v5, vcc
	v_add_u32_e32 v5, 1, v0
	v_cmp_le_u32_e32 vcc, s33, v3
	v_cndmask_b32_e32 v10, v0, v5, vcc
	s_or_b64 exec, exec, s[4:5]
	s_and_saveexec_b64 s[20:21], s[0:1]
	s_cbranch_execz .LBB6_11
.LBB6_25:                               ;   in Loop: Header=BB6_12 Depth=1
	v_mad_u64_u32 v[4:5], s[4:5], v4, s43, v[6:7]
	v_sub_u32_e32 v0, v10, v4
	v_add_u32_e32 v20, 1, v0
	v_mul_lo_u32 v4, v4, s14
	v_cvt_f32_i32_e32 v3, v20
	v_ashrrev_i32_e32 v5, 31, v4
	v_lshlrev_b64 v[4:5], 1, v[4:5]
	v_add_co_u32_e32 v21, vcc, v12, v4
	v_mul_lo_u32 v4, v2, s17
	v_addc_co_u32_e32 v22, vcc, v13, v5, vcc
	v_ashrrev_i32_e32 v5, 31, v4
	v_cvt_f16_f32_e32 v25, v3
	v_lshlrev_b64 v[4:5], 1, v[4:5]
	v_mov_b32_e32 v0, s39
	v_add_co_u32_e32 v23, vcc, s38, v4
	v_addc_co_u32_e32 v24, vcc, v0, v5, vcc
	v_cmp_lt_i32_e64 s[4:5], 0, v20
	s_mov_b64 s[22:23], 0
	v_mov_b32_e32 v4, v14
	s_branch .LBB6_27
.LBB6_26:                               ;   in Loop: Header=BB6_27 Depth=2
	v_add_u32_e32 v4, s41, v4
	v_cmp_le_i32_e32 vcc, s17, v4
	s_or_b64 s[22:23], vcc, s[22:23]
	s_andn2_b64 exec, exec, s[22:23]
	s_cbranch_execz .LBB6_11
.LBB6_27:                               ;   Parent Loop BB6_12 Depth=1
                                        ; =>  This Loop Header: Depth=2
                                        ;       Child Loop BB6_38 Depth 3
                                        ;         Child Loop BB6_41 Depth 4
                                        ;           Child Loop BB6_44 Depth 5
                                        ;             Child Loop BB6_46 Depth 6
	v_mul_hi_u32 v0, v4, v17
	v_mul_lo_u32 v3, v0, s44
	v_sub_u32_e32 v3, v4, v3
	v_add_u32_e32 v6, 1, v0
	v_cmp_le_u32_e32 vcc, s44, v3
	v_cndmask_b32_e32 v0, v0, v6, vcc
	v_subrev_u32_e32 v6, s44, v3
	v_cndmask_b32_e32 v3, v3, v6, vcc
	v_add_u32_e32 v6, 1, v0
	v_cmp_le_u32_e32 vcc, s44, v3
	v_cndmask_b32_e32 v0, v0, v6, vcc
	v_xor_b32_e32 v0, s36, v0
	v_subrev_u32_e32 v3, s36, v0
	v_mad_i64_i32 v[6:7], s[6:7], v3, s37, 0
	v_sub_co_u32_e32 v0, vcc, v4, v6
	v_subb_co_u32_e32 v6, vcc, 0, v7, vcc
	v_mul_lo_u32 v6, v6, s14
	v_mul_lo_u32 v7, v0, s45
	v_mad_u64_u32 v[8:9], s[6:7], v0, s14, 0
	v_add3_u32 v9, v9, v7, v6
	v_or_b32_e32 v7, s36, v9
	v_mov_b32_e32 v6, v1
	v_mov_b32_e32 v5, v1
	v_cmp_ne_u64_e32 vcc, 0, v[6:7]
                                        ; implicit-def: $vgpr6_vgpr7
	s_and_saveexec_b64 s[6:7], vcc
	s_xor_b64 s[8:9], exec, s[6:7]
	s_cbranch_execz .LBB6_29
; %bb.28:                               ;   in Loop: Header=BB6_27 Depth=2
	s_add_u32 s6, s37, s36
	s_mov_b32 s10, s36
	s_mov_b32 s11, s36
	s_addc_u32 s7, s36, s36
	s_xor_b64 s[24:25], s[6:7], s[10:11]
	v_cvt_f32_u32_e32 v0, s24
	v_cvt_f32_u32_e32 v6, s25
	s_sub_u32 s6, 0, s24
	s_subb_u32 s7, 0, s25
	v_mac_f32_e32 v0, 0x4f800000, v6
	v_rcp_f32_e32 v0, v0
	v_mul_f32_e32 v0, 0x5f7ffffc, v0
	v_mul_f32_e32 v6, 0x2f800000, v0
	v_trunc_f32_e32 v6, v6
	v_mac_f32_e32 v0, 0xcf800000, v6
	v_cvt_u32_f32_e32 v6, v6
	v_cvt_u32_f32_e32 v0, v0
	v_mul_lo_u32 v7, s6, v6
	v_mul_hi_u32 v11, s6, v0
	v_mul_lo_u32 v10, s7, v0
	v_add_u32_e32 v7, v11, v7
	v_mul_lo_u32 v26, s6, v0
	v_add_u32_e32 v7, v7, v10
	v_mul_lo_u32 v11, v0, v7
	v_mul_hi_u32 v27, v0, v26
	v_mul_hi_u32 v10, v0, v7
	v_add_co_u32_e32 v11, vcc, v27, v11
	v_addc_co_u32_e32 v10, vcc, 0, v10, vcc
	v_mul_hi_u32 v28, v6, v26
	v_mul_lo_u32 v26, v6, v26
	v_add_co_u32_e32 v11, vcc, v11, v26
	v_mul_hi_u32 v27, v6, v7
	v_addc_co_u32_e32 v10, vcc, v10, v28, vcc
	v_addc_co_u32_e32 v11, vcc, 0, v27, vcc
	v_mul_lo_u32 v7, v6, v7
	v_add_co_u32_e32 v7, vcc, v10, v7
	v_addc_co_u32_e32 v10, vcc, 0, v11, vcc
	v_add_co_u32_e32 v0, vcc, v0, v7
	v_addc_co_u32_e32 v6, vcc, v6, v10, vcc
	v_mul_lo_u32 v7, s6, v6
	v_mul_hi_u32 v10, s6, v0
	v_add_u32_e32 v7, v10, v7
	v_mul_lo_u32 v10, s7, v0
	v_add_u32_e32 v7, v7, v10
	v_mul_lo_u32 v11, s6, v0
	v_mul_hi_u32 v26, v6, v11
	v_mul_lo_u32 v27, v6, v11
	v_mul_lo_u32 v29, v0, v7
	v_mul_hi_u32 v11, v0, v11
	v_mul_hi_u32 v28, v0, v7
	v_add_co_u32_e32 v11, vcc, v11, v29
	v_addc_co_u32_e32 v28, vcc, 0, v28, vcc
	v_add_co_u32_e32 v11, vcc, v11, v27
	v_mul_hi_u32 v10, v6, v7
	v_addc_co_u32_e32 v11, vcc, v28, v26, vcc
	v_addc_co_u32_e32 v10, vcc, 0, v10, vcc
	v_mul_lo_u32 v7, v6, v7
	v_add_co_u32_e32 v7, vcc, v11, v7
	v_addc_co_u32_e32 v10, vcc, 0, v10, vcc
	v_add_co_u32_e32 v0, vcc, v0, v7
	v_addc_co_u32_e32 v10, vcc, v6, v10, vcc
	v_ashrrev_i32_e32 v11, 31, v9
	v_add_co_u32_e32 v6, vcc, v8, v11
	v_addc_co_u32_e32 v7, vcc, v9, v11, vcc
	v_xor_b32_e32 v27, v6, v11
	v_xor_b32_e32 v26, v7, v11
	v_mad_u64_u32 v[6:7], s[6:7], v27, v10, 0
	v_mul_hi_u32 v8, v27, v0
	v_add_co_u32_e32 v28, vcc, v8, v6
	v_addc_co_u32_e32 v29, vcc, 0, v7, vcc
	v_mad_u64_u32 v[8:9], s[6:7], v26, v0, 0
	v_add_co_u32_e32 v0, vcc, v28, v8
	v_mad_u64_u32 v[6:7], s[6:7], v26, v10, 0
	v_addc_co_u32_e32 v0, vcc, v29, v9, vcc
	v_addc_co_u32_e32 v7, vcc, 0, v7, vcc
	v_add_co_u32_e32 v0, vcc, v0, v6
	v_addc_co_u32_e32 v8, vcc, 0, v7, vcc
	v_mul_lo_u32 v9, s25, v0
	v_mul_lo_u32 v10, s24, v8
	v_mad_u64_u32 v[6:7], s[6:7], s24, v0, 0
	v_add3_u32 v7, v7, v10, v9
	v_sub_u32_e32 v9, v26, v7
	v_mov_b32_e32 v10, s25
	v_sub_co_u32_e32 v6, vcc, v27, v6
	v_subb_co_u32_e64 v9, s[6:7], v9, v10, vcc
	v_subrev_co_u32_e64 v10, s[6:7], s24, v6
	v_subbrev_co_u32_e64 v9, s[6:7], 0, v9, s[6:7]
	v_cmp_le_u32_e64 s[6:7], s25, v9
	v_cndmask_b32_e64 v27, 0, -1, s[6:7]
	v_cmp_le_u32_e64 s[6:7], s24, v10
	v_cndmask_b32_e64 v10, 0, -1, s[6:7]
	v_cmp_eq_u32_e64 s[6:7], s25, v9
	v_cndmask_b32_e64 v9, v27, v10, s[6:7]
	v_add_co_u32_e64 v10, s[6:7], 2, v0
	v_subb_co_u32_e32 v7, vcc, v26, v7, vcc
	v_addc_co_u32_e64 v27, s[6:7], 0, v8, s[6:7]
	v_cmp_le_u32_e32 vcc, s25, v7
	v_add_co_u32_e64 v28, s[6:7], 1, v0
	v_cndmask_b32_e64 v26, 0, -1, vcc
	v_cmp_le_u32_e32 vcc, s24, v6
	v_addc_co_u32_e64 v29, s[6:7], 0, v8, s[6:7]
	v_cndmask_b32_e64 v6, 0, -1, vcc
	v_cmp_eq_u32_e32 vcc, s25, v7
	v_cmp_ne_u32_e64 s[6:7], 0, v9
	v_cndmask_b32_e32 v6, v26, v6, vcc
	v_cndmask_b32_e64 v9, v29, v27, s[6:7]
	v_cmp_ne_u32_e32 vcc, 0, v6
	v_cndmask_b32_e64 v7, v28, v10, s[6:7]
	v_cndmask_b32_e32 v6, v8, v9, vcc
	v_cndmask_b32_e32 v0, v0, v7, vcc
	v_xor_b32_e32 v8, s10, v11
	v_xor_b32_e32 v7, s11, v11
	;; [unrolled: 1-line block ×4, first 2 shown]
	v_sub_co_u32_e32 v6, vcc, v0, v8
	v_subb_co_u32_e32 v7, vcc, v9, v7, vcc
                                        ; implicit-def: $vgpr8_vgpr9
.LBB6_29:                               ;   in Loop: Header=BB6_27 Depth=2
	s_or_saveexec_b64 s[6:7], s[8:9]
	v_cvt_f32_u32_e32 v26, s37
	s_xor_b64 exec, exec, s[6:7]
	s_cbranch_execz .LBB6_31
; %bb.30:                               ;   in Loop: Header=BB6_27 Depth=2
	v_rcp_iflag_f32_e32 v0, v26
	s_sub_i32 s8, 0, s37
	v_mul_f32_e32 v0, 0x4f7ffffe, v0
	v_cvt_u32_f32_e32 v0, v0
	v_mul_lo_u32 v6, s8, v0
	v_mul_hi_u32 v6, v0, v6
	v_add_u32_e32 v0, v0, v6
	v_mul_hi_u32 v0, v8, v0
	v_mul_lo_u32 v6, v0, s37
	v_sub_u32_e32 v6, v8, v6
	v_add_u32_e32 v7, 1, v0
	v_subrev_u32_e32 v8, s37, v6
	v_cmp_le_u32_e32 vcc, s37, v6
	v_cndmask_b32_e32 v6, v6, v8, vcc
	v_cndmask_b32_e32 v0, v0, v7, vcc
	v_add_u32_e32 v7, 1, v0
	v_cmp_le_u32_e32 vcc, s37, v6
	v_cndmask_b32_e32 v0, v0, v7, vcc
	v_pk_mov_b32 v[6:7], v[0:1], v[0:1] op_sel:[0,1]
.LBB6_31:                               ;   in Loop: Header=BB6_27 Depth=2
	s_or_b64 exec, exec, s[6:7]
	v_add_co_u32_e32 v0, vcc, 1, v4
	v_addc_co_u32_e64 v8, s[6:7], 0, 0, vcc
	v_mul_lo_u32 v10, v0, s45
	v_mul_lo_u32 v11, v8, s14
	v_mad_u64_u32 v[8:9], s[6:7], v0, s14, -1
	v_add3_u32 v9, v11, v9, v10
	v_or_b32_e32 v11, s36, v9
	v_mov_b32_e32 v10, v1
	v_cmp_ne_u64_e32 vcc, 0, v[10:11]
                                        ; implicit-def: $vgpr10_vgpr11
	s_and_saveexec_b64 s[6:7], vcc
	s_xor_b64 s[8:9], exec, s[6:7]
	s_cbranch_execnz .LBB6_34
; %bb.32:                               ;   in Loop: Header=BB6_27 Depth=2
	s_andn2_saveexec_b64 s[6:7], s[8:9]
	s_cbranch_execnz .LBB6_35
.LBB6_33:                               ;   in Loop: Header=BB6_27 Depth=2
	s_or_b64 exec, exec, s[6:7]
	s_andn2_b64 vcc, exec, s[2:3]
	s_cbranch_vccnz .LBB6_26
	s_branch .LBB6_36
.LBB6_34:                               ;   in Loop: Header=BB6_27 Depth=2
	s_add_u32 s6, s37, s36
	s_mov_b32 s10, s36
	s_mov_b32 s11, s36
	s_addc_u32 s7, s36, s36
	s_xor_b64 s[24:25], s[6:7], s[10:11]
	v_cvt_f32_u32_e32 v0, s24
	v_cvt_f32_u32_e32 v10, s25
	s_sub_u32 s6, 0, s24
	s_subb_u32 s7, 0, s25
	v_mac_f32_e32 v0, 0x4f800000, v10
	v_rcp_f32_e32 v0, v0
	v_mul_f32_e32 v0, 0x5f7ffffc, v0
	v_mul_f32_e32 v10, 0x2f800000, v0
	v_trunc_f32_e32 v10, v10
	v_mac_f32_e32 v0, 0xcf800000, v10
	v_cvt_u32_f32_e32 v10, v10
	v_cvt_u32_f32_e32 v0, v0
	v_mul_lo_u32 v11, s6, v10
	v_mul_hi_u32 v27, s6, v0
	v_mul_lo_u32 v26, s7, v0
	v_add_u32_e32 v11, v27, v11
	v_mul_lo_u32 v28, s6, v0
	v_add_u32_e32 v11, v11, v26
	v_mul_lo_u32 v27, v0, v11
	v_mul_hi_u32 v29, v0, v28
	v_mul_hi_u32 v26, v0, v11
	v_add_co_u32_e32 v27, vcc, v29, v27
	v_addc_co_u32_e32 v26, vcc, 0, v26, vcc
	v_mul_hi_u32 v30, v10, v28
	v_mul_lo_u32 v28, v10, v28
	v_add_co_u32_e32 v27, vcc, v27, v28
	v_mul_hi_u32 v29, v10, v11
	v_addc_co_u32_e32 v26, vcc, v26, v30, vcc
	v_addc_co_u32_e32 v27, vcc, 0, v29, vcc
	v_mul_lo_u32 v11, v10, v11
	v_add_co_u32_e32 v11, vcc, v26, v11
	v_addc_co_u32_e32 v26, vcc, 0, v27, vcc
	v_add_co_u32_e32 v0, vcc, v0, v11
	v_addc_co_u32_e32 v10, vcc, v10, v26, vcc
	v_mul_lo_u32 v11, s6, v10
	v_mul_hi_u32 v26, s6, v0
	v_add_u32_e32 v11, v26, v11
	v_mul_lo_u32 v26, s7, v0
	v_add_u32_e32 v11, v11, v26
	v_mul_lo_u32 v27, s6, v0
	v_mul_hi_u32 v28, v10, v27
	v_mul_lo_u32 v29, v10, v27
	v_mul_lo_u32 v31, v0, v11
	v_mul_hi_u32 v27, v0, v27
	v_mul_hi_u32 v30, v0, v11
	v_add_co_u32_e32 v27, vcc, v27, v31
	v_addc_co_u32_e32 v30, vcc, 0, v30, vcc
	v_add_co_u32_e32 v27, vcc, v27, v29
	v_mul_hi_u32 v26, v10, v11
	v_addc_co_u32_e32 v27, vcc, v30, v28, vcc
	v_addc_co_u32_e32 v26, vcc, 0, v26, vcc
	v_mul_lo_u32 v11, v10, v11
	v_add_co_u32_e32 v11, vcc, v27, v11
	v_addc_co_u32_e32 v26, vcc, 0, v26, vcc
	v_add_co_u32_e32 v0, vcc, v0, v11
	v_addc_co_u32_e32 v10, vcc, v10, v26, vcc
	v_ashrrev_i32_e32 v26, 31, v9
	v_add_co_u32_e32 v8, vcc, v8, v26
	v_addc_co_u32_e32 v9, vcc, v9, v26, vcc
	v_xor_b32_e32 v28, v8, v26
	v_xor_b32_e32 v27, v9, v26
	v_mad_u64_u32 v[8:9], s[6:7], v28, v10, 0
	v_mul_hi_u32 v11, v28, v0
	v_add_co_u32_e32 v29, vcc, v11, v8
	v_addc_co_u32_e32 v30, vcc, 0, v9, vcc
	v_mad_u64_u32 v[8:9], s[6:7], v27, v10, 0
	v_mad_u64_u32 v[10:11], s[6:7], v27, v0, 0
	v_add_co_u32_e32 v0, vcc, v29, v10
	v_addc_co_u32_e32 v0, vcc, v30, v11, vcc
	v_addc_co_u32_e32 v9, vcc, 0, v9, vcc
	v_add_co_u32_e32 v0, vcc, v0, v8
	v_addc_co_u32_e32 v8, vcc, 0, v9, vcc
	v_mul_lo_u32 v10, s25, v0
	v_mul_lo_u32 v11, s24, v8
	v_mad_u64_u32 v[8:9], s[6:7], s24, v0, 0
	v_add3_u32 v9, v9, v11, v10
	v_sub_u32_e32 v10, v27, v9
	v_mov_b32_e32 v11, s25
	v_sub_co_u32_e32 v8, vcc, v28, v8
	v_subb_co_u32_e64 v10, s[6:7], v10, v11, vcc
	v_subrev_co_u32_e64 v11, s[6:7], s24, v8
	v_subbrev_co_u32_e64 v10, s[6:7], 0, v10, s[6:7]
	v_cmp_le_u32_e64 s[6:7], s25, v10
	v_subb_co_u32_e32 v9, vcc, v27, v9, vcc
	v_cndmask_b32_e64 v28, 0, -1, s[6:7]
	v_cmp_le_u32_e64 s[6:7], s24, v11
	v_cmp_le_u32_e32 vcc, s25, v9
	v_cndmask_b32_e64 v11, 0, -1, s[6:7]
	v_cmp_eq_u32_e64 s[6:7], s25, v10
	v_cndmask_b32_e64 v27, 0, -1, vcc
	v_cmp_le_u32_e32 vcc, s24, v8
	v_cndmask_b32_e64 v10, v28, v11, s[6:7]
	v_cndmask_b32_e64 v8, 0, -1, vcc
	v_cmp_eq_u32_e32 vcc, s25, v9
	v_add_co_u32_e64 v11, s[6:7], 2, v0
	v_add_co_u32_e64 v28, s[6:7], 1, v0
	v_cndmask_b32_e32 v8, v27, v8, vcc
	v_cmp_ne_u32_e32 vcc, 0, v10
	v_cndmask_b32_e32 v9, v28, v11, vcc
	v_cmp_ne_u32_e32 vcc, 0, v8
	v_cndmask_b32_e32 v0, v0, v9, vcc
	v_xor_b32_e32 v8, s10, v26
	v_xor_b32_e32 v0, v0, v8
	v_sub_co_u32_e32 v10, vcc, v0, v8
                                        ; implicit-def: $vgpr26
                                        ; implicit-def: $vgpr8_vgpr9
	s_andn2_saveexec_b64 s[6:7], s[8:9]
	s_cbranch_execz .LBB6_33
.LBB6_35:                               ;   in Loop: Header=BB6_27 Depth=2
	v_rcp_iflag_f32_e32 v0, v26
	s_sub_i32 s8, 0, s37
	v_mul_f32_e32 v0, 0x4f7ffffe, v0
	v_cvt_u32_f32_e32 v0, v0
	v_mul_lo_u32 v9, s8, v0
	v_mul_hi_u32 v9, v0, v9
	v_add_u32_e32 v0, v0, v9
	v_mul_hi_u32 v0, v8, v0
	v_mul_lo_u32 v9, v0, s37
	v_sub_u32_e32 v8, v8, v9
	v_add_u32_e32 v10, 1, v0
	v_subrev_u32_e32 v9, s37, v8
	v_cmp_le_u32_e32 vcc, s37, v8
	v_cndmask_b32_e32 v8, v8, v9, vcc
	v_cndmask_b32_e32 v0, v0, v10, vcc
	v_add_u32_e32 v9, 1, v0
	v_cmp_le_u32_e32 vcc, s37, v8
	v_cndmask_b32_e32 v10, v0, v9, vcc
	s_or_b64 exec, exec, s[6:7]
	s_andn2_b64 vcc, exec, s[2:3]
	s_cbranch_vccnz .LBB6_26
.LBB6_36:                               ;   in Loop: Header=BB6_27 Depth=2
	v_lshlrev_b64 v[8:9], 1, v[4:5]
	v_add_co_u32_e32 v8, vcc, v23, v8
	v_addc_co_u32_e32 v9, vcc, v24, v9, vcc
	global_load_ushort v0, v[8:9], off
	v_cvt_f32_f16_e32 v8, v15
	v_mad_i64_i32 v[6:7], s[6:7], v3, s14, v[6:7]
	v_cvt_f32_f16_e32 v3, v25
	v_rcp_f32_e32 v7, v8
	v_sub_u32_e32 v5, v10, v6
	v_add_u32_e32 v5, 1, v5
	v_cvt_f32_i32_e32 v10, v5
	s_mov_b32 s49, 0
	v_cmp_lt_i32_e64 s[6:7], 0, v5
	v_cvt_f16_f32_e32 v10, v10
	s_waitcnt vmcnt(0)
	v_cvt_f32_f16_e32 v9, v0
	v_mul_f32_e32 v11, v9, v7
	v_mad_f32 v26, -v8, v11, v9
	v_mac_f32_e32 v11, v26, v7
	v_mad_f32 v8, -v8, v11, v9
	v_mul_f32_e32 v7, v8, v7
	v_and_b32_e32 v7, 0xff800000, v7
	v_add_f32_e32 v7, v7, v11
	v_cvt_f16_f32_e32 v7, v7
	v_rcp_f32_e32 v8, v3
	v_cvt_f32_f16_e32 v11, v10
	v_div_fixup_f16 v0, v7, v15, v0
	v_cvt_f32_f16_e32 v7, v0
	v_mul_f32_e32 v9, v7, v8
	v_mad_f32 v26, -v3, v9, v7
	v_mac_f32_e32 v9, v26, v8
	v_mad_f32 v3, -v3, v9, v7
	v_mul_f32_e32 v3, v3, v8
	v_and_b32_e32 v3, 0xff800000, v3
	v_add_f32_e32 v3, v3, v9
	v_cvt_f16_f32_e32 v3, v3
	v_rcp_f32_e32 v26, v11
	v_mov_b32_e32 v8, v1
	v_mov_b32_e32 v9, v6
	v_div_fixup_f16 v0, v3, v25, v0
	v_cvt_f32_f16_e32 v3, v0
	v_ashrrev_i64 v[6:7], 31, v[8:9]
	v_add_co_u32_e32 v6, vcc, v21, v6
	v_mul_f32_e32 v8, v3, v26
	v_mad_f32 v9, -v11, v8, v3
	v_mac_f32_e32 v8, v9, v26
	v_mad_f32 v3, -v11, v8, v3
	v_mul_f32_e32 v3, v3, v26
	v_and_b32_e32 v3, 0xff800000, v3
	v_add_f32_e32 v3, v3, v8
	v_cvt_f16_f32_e32 v8, v3
	v_addc_co_u32_e32 v3, vcc, v22, v7, vcc
	v_div_fixup_f16 v7, v8, v10, v0
	s_branch .LBB6_38
.LBB6_37:                               ;   in Loop: Header=BB6_38 Depth=3
	s_or_b64 exec, exec, s[24:25]
	s_add_i32 s49, s49, 1
	v_mov_b32_e32 v0, s19
	v_cmp_ne_u32_e32 vcc, s49, v16
	v_add_co_u32_e64 v6, s[8:9], s18, v6
	v_addc_co_u32_e64 v3, s[8:9], v3, v0, s[8:9]
	s_cbranch_vccz .LBB6_26
.LBB6_38:                               ;   Parent Loop BB6_12 Depth=1
                                        ;     Parent Loop BB6_27 Depth=2
                                        ; =>    This Loop Header: Depth=3
                                        ;         Child Loop BB6_41 Depth 4
                                        ;           Child Loop BB6_44 Depth 5
                                        ;             Child Loop BB6_46 Depth 6
	s_and_saveexec_b64 s[24:25], s[4:5]
	s_cbranch_execz .LBB6_37
; %bb.39:                               ;   in Loop: Header=BB6_38 Depth=3
	s_mov_b32 s50, 0
	s_mov_b64 s[26:27], 0
	s_branch .LBB6_41
.LBB6_40:                               ;   in Loop: Header=BB6_41 Depth=4
	s_or_b64 exec, exec, s[28:29]
	s_add_i32 s50, s50, 1
	v_cmp_ge_i32_e32 vcc, s50, v20
	s_or_b64 s[26:27], vcc, s[26:27]
	s_andn2_b64 exec, exec, s[26:27]
	s_cbranch_execz .LBB6_37
.LBB6_41:                               ;   Parent Loop BB6_12 Depth=1
                                        ;     Parent Loop BB6_27 Depth=2
                                        ;       Parent Loop BB6_38 Depth=3
                                        ; =>      This Loop Header: Depth=4
                                        ;           Child Loop BB6_44 Depth 5
                                        ;             Child Loop BB6_46 Depth 6
	s_and_saveexec_b64 s[28:29], s[6:7]
	s_cbranch_execz .LBB6_40
; %bb.42:                               ;   in Loop: Header=BB6_41 Depth=4
	s_mul_i32 s51, s50, s14
	s_mov_b32 s52, 0
	s_mov_b64 s[30:31], 0
	s_branch .LBB6_44
.LBB6_43:                               ;   in Loop: Header=BB6_44 Depth=5
	s_or_b64 exec, exec, s[34:35]
	s_add_i32 s52, s52, 1
	v_cmp_ge_i32_e32 vcc, s52, v5
	s_or_b64 s[30:31], vcc, s[30:31]
	s_andn2_b64 exec, exec, s[30:31]
	s_cbranch_execz .LBB6_40
.LBB6_44:                               ;   Parent Loop BB6_12 Depth=1
                                        ;     Parent Loop BB6_27 Depth=2
                                        ;       Parent Loop BB6_38 Depth=3
                                        ;         Parent Loop BB6_41 Depth=4
                                        ; =>        This Loop Header: Depth=5
                                        ;             Child Loop BB6_46 Depth 6
	s_add_i32 s8, s52, s51
	s_ashr_i32 s9, s8, 31
	s_lshl_b64 s[8:9], s[8:9], 1
	v_mov_b32_e32 v0, s9
	v_add_co_u32_e32 v10, vcc, s8, v6
	v_addc_co_u32_e32 v9, vcc, v3, v0, vcc
	v_and_b32_e32 v8, -3, v10
	global_load_dword v11, v[8:9], off
	v_and_b32_e32 v0, 2, v10
	v_cmp_eq_u64_e32 vcc, 0, v[0:1]
	v_cmp_ne_u32_e64 s[8:9], 0, v0
	s_mov_b64 s[34:35], 0
	s_branch .LBB6_46
.LBB6_45:                               ;   in Loop: Header=BB6_46 Depth=6
	s_or_b64 exec, exec, s[10:11]
	global_atomic_cmpswap v0, v[8:9], v[10:11], off glc
	s_waitcnt vmcnt(0)
	v_cmp_eq_u32_e64 s[10:11], v11, v0
	s_or_b64 s[34:35], s[10:11], s[34:35]
	v_mov_b32_e32 v11, v0
	s_andn2_b64 exec, exec, s[34:35]
	s_cbranch_execz .LBB6_43
.LBB6_46:                               ;   Parent Loop BB6_12 Depth=1
                                        ;     Parent Loop BB6_27 Depth=2
                                        ;       Parent Loop BB6_38 Depth=3
                                        ;         Parent Loop BB6_41 Depth=4
                                        ;           Parent Loop BB6_44 Depth=5
                                        ; =>          This Inner Loop Header: Depth=6
	s_waitcnt vmcnt(0)
	v_lshrrev_b32_e32 v0, 16, v11
	v_cndmask_b32_e32 v0, v0, v11, vcc
	v_add_f16_e32 v0, v7, v0
	s_and_saveexec_b64 s[10:11], s[8:9]
	s_xor_b64 s[10:11], exec, s[10:11]
; %bb.47:                               ;   in Loop: Header=BB6_46 Depth=6
	v_and_b32_e32 v10, 0xffff, v11
	v_lshl_or_b32 v10, v0, 16, v10
                                        ; implicit-def: $vgpr0
; %bb.48:                               ;   in Loop: Header=BB6_46 Depth=6
	s_andn2_saveexec_b64 s[10:11], s[10:11]
	s_cbranch_execz .LBB6_45
; %bb.49:                               ;   in Loop: Header=BB6_46 Depth=6
	v_and_or_b32 v10, v11, s48, v0
	s_branch .LBB6_45
.LBB6_50:
	s_endpgm
.LBB6_51:
                                        ; implicit-def: $sgpr10_sgpr11
	s_branch .LBB6_2
.LBB6_52:
                                        ; implicit-def: $vgpr4_vgpr5
	s_load_dword s11, s[4:5], 0x3c
	s_branch .LBB6_5
.LBB6_53:
                                        ; implicit-def: $vgpr6_vgpr7
	s_load_dword s40, s[4:5], 0x34
	s_andn2_b64 vcc, exec, s[18:19]
	s_cbranch_vccz .LBB6_9
	s_branch .LBB6_10
	.section	.rodata,"a",@progbits
	.p2align	6, 0x0
	.amdhsa_kernel _ZN2at6native12_GLOBAL__N_130atomicadaptiveaveragegradinputIN3c104HalfEEEvPT_PKS5_iiiiiil
		.amdhsa_group_segment_fixed_size 0
		.amdhsa_private_segment_fixed_size 0
		.amdhsa_kernarg_size 304
		.amdhsa_user_sgpr_count 6
		.amdhsa_user_sgpr_private_segment_buffer 1
		.amdhsa_user_sgpr_dispatch_ptr 0
		.amdhsa_user_sgpr_queue_ptr 0
		.amdhsa_user_sgpr_kernarg_segment_ptr 1
		.amdhsa_user_sgpr_dispatch_id 0
		.amdhsa_user_sgpr_flat_scratch_init 0
		.amdhsa_user_sgpr_kernarg_preload_length 0
		.amdhsa_user_sgpr_kernarg_preload_offset 0
		.amdhsa_user_sgpr_private_segment_size 0
		.amdhsa_uses_dynamic_stack 0
		.amdhsa_system_sgpr_private_segment_wavefront_offset 0
		.amdhsa_system_sgpr_workgroup_id_x 1
		.amdhsa_system_sgpr_workgroup_id_y 1
		.amdhsa_system_sgpr_workgroup_id_z 0
		.amdhsa_system_sgpr_workgroup_info 0
		.amdhsa_system_vgpr_workitem_id 1
		.amdhsa_next_free_vgpr 32
		.amdhsa_next_free_sgpr 53
		.amdhsa_accum_offset 32
		.amdhsa_reserve_vcc 1
		.amdhsa_reserve_flat_scratch 0
		.amdhsa_float_round_mode_32 0
		.amdhsa_float_round_mode_16_64 0
		.amdhsa_float_denorm_mode_32 3
		.amdhsa_float_denorm_mode_16_64 3
		.amdhsa_dx10_clamp 1
		.amdhsa_ieee_mode 1
		.amdhsa_fp16_overflow 0
		.amdhsa_tg_split 0
		.amdhsa_exception_fp_ieee_invalid_op 0
		.amdhsa_exception_fp_denorm_src 0
		.amdhsa_exception_fp_ieee_div_zero 0
		.amdhsa_exception_fp_ieee_overflow 0
		.amdhsa_exception_fp_ieee_underflow 0
		.amdhsa_exception_fp_ieee_inexact 0
		.amdhsa_exception_int_div_zero 0
	.end_amdhsa_kernel
	.section	.text._ZN2at6native12_GLOBAL__N_130atomicadaptiveaveragegradinputIN3c104HalfEEEvPT_PKS5_iiiiiil,"axG",@progbits,_ZN2at6native12_GLOBAL__N_130atomicadaptiveaveragegradinputIN3c104HalfEEEvPT_PKS5_iiiiiil,comdat
.Lfunc_end6:
	.size	_ZN2at6native12_GLOBAL__N_130atomicadaptiveaveragegradinputIN3c104HalfEEEvPT_PKS5_iiiiiil, .Lfunc_end6-_ZN2at6native12_GLOBAL__N_130atomicadaptiveaveragegradinputIN3c104HalfEEEvPT_PKS5_iiiiiil
                                        ; -- End function
	.section	.AMDGPU.csdata,"",@progbits
; Kernel info:
; codeLenInByte = 6824
; NumSgprs: 57
; NumVgprs: 32
; NumAgprs: 0
; TotalNumVgprs: 32
; ScratchSize: 0
; MemoryBound: 0
; FloatMode: 240
; IeeeMode: 1
; LDSByteSize: 0 bytes/workgroup (compile time only)
; SGPRBlocks: 7
; VGPRBlocks: 3
; NumSGPRsForWavesPerEU: 57
; NumVGPRsForWavesPerEU: 32
; AccumOffset: 32
; Occupancy: 8
; WaveLimiterHint : 0
; COMPUTE_PGM_RSRC2:SCRATCH_EN: 0
; COMPUTE_PGM_RSRC2:USER_SGPR: 6
; COMPUTE_PGM_RSRC2:TRAP_HANDLER: 0
; COMPUTE_PGM_RSRC2:TGID_X_EN: 1
; COMPUTE_PGM_RSRC2:TGID_Y_EN: 1
; COMPUTE_PGM_RSRC2:TGID_Z_EN: 0
; COMPUTE_PGM_RSRC2:TIDIG_COMP_CNT: 1
; COMPUTE_PGM_RSRC3_GFX90A:ACCUM_OFFSET: 7
; COMPUTE_PGM_RSRC3_GFX90A:TG_SPLIT: 0
	.section	.text._ZN2at6native12_GLOBAL__N_130atomicadaptiveaveragegradinputIN3c108BFloat16EEEvPT_PKS5_iiiiiil,"axG",@progbits,_ZN2at6native12_GLOBAL__N_130atomicadaptiveaveragegradinputIN3c108BFloat16EEEvPT_PKS5_iiiiiil,comdat
	.globl	_ZN2at6native12_GLOBAL__N_130atomicadaptiveaveragegradinputIN3c108BFloat16EEEvPT_PKS5_iiiiiil ; -- Begin function _ZN2at6native12_GLOBAL__N_130atomicadaptiveaveragegradinputIN3c108BFloat16EEEvPT_PKS5_iiiiiil
	.p2align	8
	.type	_ZN2at6native12_GLOBAL__N_130atomicadaptiveaveragegradinputIN3c108BFloat16EEEvPT_PKS5_iiiiiil,@function
_ZN2at6native12_GLOBAL__N_130atomicadaptiveaveragegradinputIN3c108BFloat16EEEvPT_PKS5_iiiiiil: ; @_ZN2at6native12_GLOBAL__N_130atomicadaptiveaveragegradinputIN3c108BFloat16EEEvPT_PKS5_iiiiiil
; %bb.0:
	s_load_dwordx8 s[12:19], s[4:5], 0x10
	s_mov_b32 s0, 0
	s_waitcnt lgkmcnt(0)
	s_add_u32 s2, s6, s18
	s_addc_u32 s3, 0, s19
	s_ashr_i32 s9, s15, 31
	s_mov_b32 s8, s15
	s_or_b64 s[10:11], s[2:3], s[8:9]
	s_mov_b32 s1, s11
	s_cmp_lg_u64 s[0:1], 0
	s_cbranch_scc0 .LBB7_55
; %bb.1:
	s_add_u32 s0, s8, s9
	s_mov_b32 s10, s9
	s_mov_b32 s11, s9
	s_addc_u32 s1, s9, s9
	s_xor_b64 s[20:21], s[0:1], s[10:11]
	v_cvt_f32_u32_e32 v1, s20
	v_cvt_f32_u32_e32 v2, s21
	s_sub_u32 s0, 0, s20
	s_subb_u32 s1, 0, s21
	v_madmk_f32 v1, v2, 0x4f800000, v1
	v_rcp_f32_e32 v1, v1
	v_mul_f32_e32 v1, 0x5f7ffffc, v1
	v_mul_f32_e32 v2, 0x2f800000, v1
	v_trunc_f32_e32 v2, v2
	v_madmk_f32 v1, v2, 0xcf800000, v1
	v_cvt_u32_f32_e32 v2, v2
	v_cvt_u32_f32_e32 v1, v1
	v_readfirstlane_b32 s6, v2
	v_readfirstlane_b32 s15, v1
	s_mul_i32 s22, s0, s6
	s_mul_hi_u32 s24, s0, s15
	s_mul_i32 s23, s1, s15
	s_add_i32 s22, s24, s22
	s_add_i32 s22, s22, s23
	s_mul_i32 s25, s0, s15
	s_mul_hi_u32 s23, s15, s22
	s_mul_i32 s24, s15, s22
	s_mul_hi_u32 s15, s15, s25
	s_add_u32 s15, s15, s24
	s_addc_u32 s23, 0, s23
	s_mul_hi_u32 s26, s6, s25
	s_mul_i32 s25, s6, s25
	s_add_u32 s15, s15, s25
	s_mul_hi_u32 s24, s6, s22
	s_addc_u32 s15, s23, s26
	s_addc_u32 s23, s24, 0
	s_mul_i32 s22, s6, s22
	s_add_u32 s15, s15, s22
	s_addc_u32 s22, 0, s23
	v_add_co_u32_e32 v1, vcc, s15, v1
	s_cmp_lg_u64 vcc, 0
	s_addc_u32 s6, s6, s22
	v_readfirstlane_b32 s22, v1
	s_mul_i32 s15, s0, s6
	s_mul_hi_u32 s23, s0, s22
	s_add_i32 s15, s23, s15
	s_mul_i32 s1, s1, s22
	s_add_i32 s15, s15, s1
	s_mul_i32 s0, s0, s22
	s_mul_hi_u32 s23, s6, s0
	s_mul_i32 s24, s6, s0
	s_mul_i32 s26, s22, s15
	s_mul_hi_u32 s0, s22, s0
	s_mul_hi_u32 s25, s22, s15
	s_add_u32 s0, s0, s26
	s_addc_u32 s22, 0, s25
	s_add_u32 s0, s0, s24
	s_mul_hi_u32 s1, s6, s15
	s_addc_u32 s0, s22, s23
	s_addc_u32 s1, s1, 0
	s_mul_i32 s15, s6, s15
	s_add_u32 s0, s0, s15
	s_addc_u32 s1, 0, s1
	v_add_co_u32_e32 v1, vcc, s0, v1
	s_cmp_lg_u64 vcc, 0
	s_addc_u32 s6, s6, s1
	s_ashr_i32 s22, s3, 31
	s_add_u32 s0, s2, s22
	s_mov_b32 s23, s22
	s_addc_u32 s1, s3, s22
	s_xor_b64 s[24:25], s[0:1], s[22:23]
	v_readfirstlane_b32 s15, v1
	s_mul_i32 s1, s24, s6
	s_mul_hi_u32 s26, s24, s15
	s_mul_hi_u32 s0, s24, s6
	s_add_u32 s1, s26, s1
	s_addc_u32 s0, 0, s0
	s_mul_hi_u32 s27, s25, s15
	s_mul_i32 s15, s25, s15
	s_add_u32 s1, s1, s15
	s_mul_hi_u32 s26, s25, s6
	s_addc_u32 s0, s0, s27
	s_addc_u32 s1, s26, 0
	s_mul_i32 s6, s25, s6
	s_add_u32 s6, s0, s6
	s_addc_u32 s15, 0, s1
	s_mul_i32 s0, s20, s15
	s_mul_hi_u32 s1, s20, s6
	s_add_i32 s0, s1, s0
	s_mul_i32 s1, s21, s6
	s_add_i32 s26, s0, s1
	s_mul_i32 s1, s20, s6
	v_mov_b32_e32 v1, s1
	s_sub_i32 s0, s25, s26
	v_sub_co_u32_e32 v1, vcc, s24, v1
	s_cmp_lg_u64 vcc, 0
	s_subb_u32 s24, s0, s21
	v_subrev_co_u32_e64 v2, s[0:1], s20, v1
	s_cmp_lg_u64 s[0:1], 0
	s_subb_u32 s0, s24, 0
	s_cmp_ge_u32 s0, s21
	v_readfirstlane_b32 s24, v2
	s_cselect_b32 s1, -1, 0
	s_cmp_ge_u32 s24, s20
	s_cselect_b32 s24, -1, 0
	s_cmp_eq_u32 s0, s21
	s_cselect_b32 s0, s24, s1
	s_add_u32 s1, s6, 1
	s_addc_u32 s24, s15, 0
	s_add_u32 s27, s6, 2
	s_addc_u32 s28, s15, 0
	s_cmp_lg_u32 s0, 0
	s_cselect_b32 s0, s27, s1
	s_cselect_b32 s1, s28, s24
	s_cmp_lg_u64 vcc, 0
	s_subb_u32 s24, s25, s26
	s_cmp_ge_u32 s24, s21
	v_readfirstlane_b32 s26, v1
	s_cselect_b32 s25, -1, 0
	s_cmp_ge_u32 s26, s20
	s_cselect_b32 s20, -1, 0
	s_cmp_eq_u32 s24, s21
	s_cselect_b32 s20, s20, s25
	s_cmp_lg_u32 s20, 0
	s_cselect_b32 s1, s1, s15
	s_cselect_b32 s0, s0, s6
	s_xor_b64 s[10:11], s[22:23], s[10:11]
	s_xor_b64 s[0:1], s[0:1], s[10:11]
	s_sub_u32 s10, s0, s10
	s_subb_u32 s11, s1, s11
	s_cbranch_execnz .LBB7_3
.LBB7_2:
	v_cvt_f32_u32_e32 v1, s8
	s_sub_i32 s0, 0, s8
	s_mov_b32 s11, 0
	v_rcp_iflag_f32_e32 v1, v1
	v_mul_f32_e32 v1, 0x4f7ffffe, v1
	v_cvt_u32_f32_e32 v1, v1
	v_readfirstlane_b32 s1, v1
	s_mul_i32 s0, s0, s1
	s_mul_hi_u32 s0, s1, s0
	s_add_i32 s1, s1, s0
	s_mul_hi_u32 s0, s2, s1
	s_mul_i32 s6, s0, s8
	s_sub_i32 s6, s2, s6
	s_add_i32 s1, s0, 1
	s_sub_i32 s10, s6, s8
	s_cmp_ge_u32 s6, s8
	s_cselect_b32 s0, s1, s0
	s_cselect_b32 s6, s10, s6
	s_add_i32 s1, s0, 1
	s_cmp_ge_u32 s6, s8
	s_cselect_b32 s10, s1, s0
.LBB7_3:
	s_mul_i32 s0, s10, s9
	s_mul_hi_u32 s1, s10, s8
	s_add_i32 s0, s1, s0
	s_mul_i32 s1, s11, s8
	s_add_i32 s0, s0, s1
	s_mul_i32 s1, s10, s8
	s_sub_u32 s1, s2, s1
	s_subb_u32 s0, s3, s0
	s_ashr_i32 s6, s12, 31
	s_mul_i32 s11, s1, s6
	s_mul_hi_u32 s15, s1, s12
	s_add_i32 s11, s15, s11
	s_mul_i32 s0, s0, s12
	s_add_i32 s19, s11, s0
	s_mul_i32 s18, s1, s12
	s_or_b64 s[0:1], s[18:19], s[8:9]
	s_mov_b32 s0, 0
	s_cmp_lg_u64 s[0:1], 0
	s_mov_b32 s15, s12
	s_cbranch_scc0 .LBB7_56
; %bb.4:
	s_add_u32 s0, s8, s9
	s_mov_b32 s20, s9
	s_mov_b32 s21, s9
	s_addc_u32 s1, s9, s9
	s_xor_b64 s[24:25], s[0:1], s[20:21]
	v_cvt_f32_u32_e32 v1, s24
	v_cvt_f32_u32_e32 v2, s25
	s_sub_u32 s0, 0, s24
	s_subb_u32 s1, 0, s25
	v_madmk_f32 v1, v2, 0x4f800000, v1
	v_rcp_f32_e32 v1, v1
	v_mul_f32_e32 v1, 0x5f7ffffc, v1
	v_mul_f32_e32 v2, 0x2f800000, v1
	v_trunc_f32_e32 v2, v2
	v_madmk_f32 v1, v2, 0xcf800000, v1
	v_cvt_u32_f32_e32 v2, v2
	v_cvt_u32_f32_e32 v1, v1
	v_readfirstlane_b32 s11, v2
	v_readfirstlane_b32 s26, v1
	s_mul_i32 s27, s0, s11
	s_mul_hi_u32 s29, s0, s26
	s_mul_i32 s28, s1, s26
	s_add_i32 s27, s29, s27
	s_add_i32 s27, s27, s28
	s_mul_i32 s30, s0, s26
	s_mul_hi_u32 s28, s26, s27
	s_mul_i32 s29, s26, s27
	s_mul_hi_u32 s26, s26, s30
	s_add_u32 s26, s26, s29
	s_addc_u32 s28, 0, s28
	s_mul_hi_u32 s31, s11, s30
	s_mul_i32 s30, s11, s30
	s_add_u32 s26, s26, s30
	s_mul_hi_u32 s29, s11, s27
	s_addc_u32 s26, s28, s31
	s_addc_u32 s28, s29, 0
	s_mul_i32 s27, s11, s27
	s_add_u32 s26, s26, s27
	s_addc_u32 s27, 0, s28
	v_add_co_u32_e32 v1, vcc, s26, v1
	s_cmp_lg_u64 vcc, 0
	s_addc_u32 s11, s11, s27
	v_readfirstlane_b32 s27, v1
	s_mul_i32 s26, s0, s11
	s_mul_hi_u32 s28, s0, s27
	s_add_i32 s26, s28, s26
	s_mul_i32 s1, s1, s27
	s_add_i32 s26, s26, s1
	s_mul_i32 s0, s0, s27
	s_mul_hi_u32 s28, s11, s0
	s_mul_i32 s29, s11, s0
	s_mul_i32 s31, s27, s26
	s_mul_hi_u32 s0, s27, s0
	s_mul_hi_u32 s30, s27, s26
	s_add_u32 s0, s0, s31
	s_addc_u32 s27, 0, s30
	s_add_u32 s0, s0, s29
	s_mul_hi_u32 s1, s11, s26
	s_addc_u32 s0, s27, s28
	s_addc_u32 s1, s1, 0
	s_mul_i32 s26, s11, s26
	s_add_u32 s0, s0, s26
	s_addc_u32 s1, 0, s1
	v_add_co_u32_e32 v1, vcc, s0, v1
	s_cmp_lg_u64 vcc, 0
	s_addc_u32 s11, s11, s1
	s_ashr_i32 s26, s19, 31
	s_add_u32 s0, s18, s26
	s_mov_b32 s27, s26
	s_addc_u32 s1, s19, s26
	s_xor_b64 s[28:29], s[0:1], s[26:27]
	v_readfirstlane_b32 s30, v1
	s_mul_i32 s1, s28, s11
	s_mul_hi_u32 s31, s28, s30
	s_mul_hi_u32 s0, s28, s11
	s_add_u32 s1, s31, s1
	s_addc_u32 s0, 0, s0
	s_mul_hi_u32 s33, s29, s30
	s_mul_i32 s30, s29, s30
	s_add_u32 s1, s1, s30
	s_mul_hi_u32 s31, s29, s11
	s_addc_u32 s0, s0, s33
	s_addc_u32 s1, s31, 0
	s_mul_i32 s11, s29, s11
	s_add_u32 s11, s0, s11
	s_addc_u32 s0, 0, s1
	s_mul_i32 s0, s24, s0
	s_mul_hi_u32 s1, s24, s11
	s_add_i32 s0, s1, s0
	s_mul_i32 s1, s25, s11
	s_add_i32 s30, s0, s1
	s_mul_i32 s1, s24, s11
	v_mov_b32_e32 v1, s1
	s_sub_i32 s0, s29, s30
	v_sub_co_u32_e32 v1, vcc, s28, v1
	s_cmp_lg_u64 vcc, 0
	s_subb_u32 s28, s0, s25
	v_subrev_co_u32_e64 v2, s[0:1], s24, v1
	s_cmp_lg_u64 s[0:1], 0
	s_subb_u32 s28, s28, 0
	s_cmp_ge_u32 s28, s25
	s_cselect_b32 s31, -1, 0
	v_cmp_le_u32_e64 s[0:1], s24, v2
	s_cmp_eq_u32 s28, s25
	v_cndmask_b32_e64 v2, 0, -1, s[0:1]
	v_mov_b32_e32 v3, s31
	s_cselect_b64 s[0:1], -1, 0
	v_cndmask_b32_e64 v2, v3, v2, s[0:1]
	s_add_u32 s0, s11, 1
	s_add_u32 s1, s11, 2
	v_mov_b32_e32 v3, s0
	v_mov_b32_e32 v4, s1
	v_cmp_ne_u32_e64 s[0:1], 0, v2
	s_cmp_lg_u64 vcc, 0
	v_cndmask_b32_e64 v2, v3, v4, s[0:1]
	s_subb_u32 s0, s29, s30
	s_cmp_ge_u32 s0, s25
	s_cselect_b32 s1, -1, 0
	v_cmp_le_u32_e32 vcc, s24, v1
	s_cmp_eq_u32 s0, s25
	v_cndmask_b32_e64 v1, 0, -1, vcc
	v_mov_b32_e32 v3, s1
	s_cselect_b64 vcc, -1, 0
	v_cndmask_b32_e32 v1, v3, v1, vcc
	v_mov_b32_e32 v3, s11
	v_cmp_ne_u32_e32 vcc, 0, v1
	v_cndmask_b32_e32 v1, v3, v2, vcc
	s_xor_b64 s[0:1], s[26:27], s[20:21]
	v_xor_b32_e32 v1, s0, v1
	v_subrev_co_u32_e32 v4, vcc, s0, v1
	s_load_dword s11, s[4:5], 0x3c
	s_cbranch_execnz .LBB7_6
.LBB7_5:
	v_cvt_f32_u32_e32 v1, s8
	s_sub_i32 s0, 0, s8
	v_rcp_iflag_f32_e32 v1, v1
	v_mul_f32_e32 v1, 0x4f7ffffe, v1
	v_cvt_u32_f32_e32 v1, v1
	v_mul_lo_u32 v2, s0, v1
	v_mul_hi_u32 v2, v1, v2
	v_add_u32_e32 v1, v1, v2
	v_mul_hi_u32 v1, s18, v1
	v_mul_lo_u32 v3, v1, s8
	v_sub_u32_e32 v3, s18, v3
	v_add_u32_e32 v2, 1, v1
	v_subrev_u32_e32 v4, s8, v3
	v_cmp_le_u32_e32 vcc, s8, v3
	v_cndmask_b32_e32 v3, v3, v4, vcc
	v_cndmask_b32_e32 v1, v1, v2, vcc
	v_add_u32_e32 v2, 1, v1
	v_cmp_le_u32_e32 vcc, s8, v3
	v_cndmask_b32_e32 v4, v1, v2, vcc
.LBB7_6:
	s_waitcnt lgkmcnt(0)
	s_lshr_b32 s24, s11, 16
	s_mul_i32 s7, s7, s24
	v_bfe_u32 v1, v0, 10, 10
	v_add_u32_e32 v2, s7, v1
	v_cmp_gt_i32_e32 vcc, s16, v2
	s_and_saveexec_b64 s[0:1], vcc
	s_cbranch_execz .LBB7_54
; %bb.7:
	s_add_u32 s0, s18, s15
	s_addc_u32 s1, s19, s6
	s_add_u32 s6, s0, -1
	s_addc_u32 s7, s1, -1
	s_or_b64 s[0:1], s[6:7], s[8:9]
	s_mov_b32 s0, 0
	s_cmp_lg_u64 s[0:1], 0
	s_mov_b64 s[18:19], -1
	s_cbranch_scc0 .LBB7_57
; %bb.8:
	s_add_u32 s0, s8, s9
	s_mov_b32 s20, s9
	s_mov_b32 s21, s9
	s_addc_u32 s1, s9, s9
	s_xor_b64 s[22:23], s[0:1], s[20:21]
	v_cvt_f32_u32_e32 v1, s22
	v_cvt_f32_u32_e32 v3, s23
	s_sub_u32 s0, 0, s22
	s_subb_u32 s1, 0, s23
	v_madmk_f32 v1, v3, 0x4f800000, v1
	v_rcp_f32_e32 v1, v1
	v_mul_f32_e32 v1, 0x5f7ffffc, v1
	v_mul_f32_e32 v3, 0x2f800000, v1
	v_trunc_f32_e32 v3, v3
	v_madmk_f32 v1, v3, 0xcf800000, v1
	v_cvt_u32_f32_e32 v3, v3
	v_cvt_u32_f32_e32 v1, v1
	v_readfirstlane_b32 s9, v3
	v_readfirstlane_b32 s15, v1
	s_mul_i32 s25, s0, s9
	s_mul_hi_u32 s27, s0, s15
	s_mul_i32 s26, s1, s15
	s_add_i32 s25, s27, s25
	s_add_i32 s25, s25, s26
	s_mul_i32 s28, s0, s15
	s_mul_hi_u32 s26, s15, s25
	s_mul_i32 s27, s15, s25
	s_mul_hi_u32 s15, s15, s28
	s_add_u32 s15, s15, s27
	s_addc_u32 s26, 0, s26
	s_mul_hi_u32 s29, s9, s28
	s_mul_i32 s28, s9, s28
	s_add_u32 s15, s15, s28
	s_mul_hi_u32 s27, s9, s25
	s_addc_u32 s15, s26, s29
	s_addc_u32 s26, s27, 0
	s_mul_i32 s25, s9, s25
	s_add_u32 s15, s15, s25
	s_addc_u32 s25, 0, s26
	v_add_co_u32_e32 v1, vcc, s15, v1
	s_cmp_lg_u64 vcc, 0
	s_addc_u32 s9, s9, s25
	v_readfirstlane_b32 s25, v1
	s_mul_i32 s15, s0, s9
	s_mul_hi_u32 s26, s0, s25
	s_add_i32 s15, s26, s15
	s_mul_i32 s1, s1, s25
	s_add_i32 s15, s15, s1
	s_mul_i32 s0, s0, s25
	s_mul_hi_u32 s26, s9, s0
	s_mul_i32 s27, s9, s0
	s_mul_i32 s29, s25, s15
	s_mul_hi_u32 s0, s25, s0
	s_mul_hi_u32 s28, s25, s15
	s_add_u32 s0, s0, s29
	s_addc_u32 s25, 0, s28
	s_add_u32 s0, s0, s27
	s_mul_hi_u32 s1, s9, s15
	s_addc_u32 s0, s25, s26
	s_addc_u32 s1, s1, 0
	s_mul_i32 s15, s9, s15
	s_add_u32 s0, s0, s15
	s_addc_u32 s1, 0, s1
	v_add_co_u32_e32 v1, vcc, s0, v1
	s_cmp_lg_u64 vcc, 0
	s_addc_u32 s9, s9, s1
	s_ashr_i32 s26, s7, 31
	s_add_u32 s0, s6, s26
	s_mov_b32 s27, s26
	s_addc_u32 s1, s7, s26
	s_xor_b64 s[28:29], s[0:1], s[26:27]
	v_readfirstlane_b32 s7, v1
	s_mul_i32 s1, s28, s9
	s_mul_hi_u32 s15, s28, s7
	s_mul_hi_u32 s0, s28, s9
	s_add_u32 s1, s15, s1
	s_addc_u32 s0, 0, s0
	s_mul_hi_u32 s25, s29, s7
	s_mul_i32 s7, s29, s7
	s_add_u32 s1, s1, s7
	s_mul_hi_u32 s15, s29, s9
	s_addc_u32 s0, s0, s25
	s_addc_u32 s1, s15, 0
	s_mul_i32 s7, s29, s9
	s_add_u32 s7, s0, s7
	s_addc_u32 s0, 0, s1
	s_mul_i32 s0, s22, s0
	s_mul_hi_u32 s1, s22, s7
	s_add_i32 s0, s1, s0
	s_mul_i32 s1, s23, s7
	s_add_i32 s9, s0, s1
	s_mul_i32 s1, s22, s7
	v_mov_b32_e32 v1, s1
	s_sub_i32 s0, s29, s9
	v_sub_co_u32_e32 v1, vcc, s28, v1
	s_cmp_lg_u64 vcc, 0
	s_subb_u32 s15, s0, s23
	v_subrev_co_u32_e64 v3, s[0:1], s22, v1
	s_cmp_lg_u64 s[0:1], 0
	s_subb_u32 s15, s15, 0
	s_cmp_ge_u32 s15, s23
	s_cselect_b32 s25, -1, 0
	v_cmp_le_u32_e64 s[0:1], s22, v3
	s_cmp_eq_u32 s15, s23
	v_cndmask_b32_e64 v3, 0, -1, s[0:1]
	v_mov_b32_e32 v5, s25
	s_cselect_b64 s[0:1], -1, 0
	v_cndmask_b32_e64 v3, v5, v3, s[0:1]
	s_add_u32 s0, s7, 1
	s_add_u32 s1, s7, 2
	v_mov_b32_e32 v5, s0
	v_mov_b32_e32 v6, s1
	v_cmp_ne_u32_e64 s[0:1], 0, v3
	s_cmp_lg_u64 vcc, 0
	v_cndmask_b32_e64 v3, v5, v6, s[0:1]
	s_subb_u32 s0, s29, s9
	s_cmp_ge_u32 s0, s23
	s_cselect_b32 s1, -1, 0
	v_cmp_le_u32_e32 vcc, s22, v1
	s_cmp_eq_u32 s0, s23
	v_cndmask_b32_e64 v1, 0, -1, vcc
	v_mov_b32_e32 v5, s1
	s_cselect_b64 vcc, -1, 0
	v_cndmask_b32_e32 v1, v5, v1, vcc
	v_mov_b32_e32 v5, s7
	v_cmp_ne_u32_e32 vcc, 0, v1
	v_cndmask_b32_e32 v1, v5, v3, vcc
	s_xor_b64 s[0:1], s[26:27], s[20:21]
	v_xor_b32_e32 v1, s0, v1
	v_subrev_co_u32_e32 v6, vcc, s0, v1
	s_load_dword s40, s[4:5], 0x34
	s_cbranch_execnz .LBB7_10
.LBB7_9:
	v_cvt_f32_u32_e32 v1, s8
	s_sub_i32 s0, 0, s8
	v_rcp_iflag_f32_e32 v1, v1
	v_mul_f32_e32 v1, 0x4f7ffffe, v1
	v_cvt_u32_f32_e32 v1, v1
	v_mul_lo_u32 v3, s0, v1
	v_mul_hi_u32 v3, v1, v3
	v_add_u32_e32 v1, v1, v3
	v_mul_hi_u32 v1, s6, v1
	v_mul_lo_u32 v5, v1, s8
	v_sub_u32_e32 v5, s6, v5
	v_add_u32_e32 v3, 1, v1
	v_subrev_u32_e32 v6, s8, v5
	v_cmp_le_u32_e32 vcc, s8, v5
	v_cndmask_b32_e32 v5, v5, v6, vcc
	v_cndmask_b32_e32 v1, v1, v3, vcc
	v_add_u32_e32 v3, 1, v1
	v_cmp_le_u32_e32 vcc, s8, v5
	v_cndmask_b32_e32 v6, v1, v3, vcc
.LBB7_10:
	s_load_dwordx4 s[4:7], s[4:5], 0x0
	s_mul_i32 s0, s10, s12
	v_add_u32_e32 v1, s0, v4
	s_mul_i32 s8, s14, s13
	v_mul_lo_u32 v8, s8, v1
	v_ashrrev_i32_e32 v9, 31, v8
	v_lshlrev_b64 v[8:9], 1, v[8:9]
	s_waitcnt lgkmcnt(0)
	v_mov_b32_e32 v1, s5
	v_add_co_u32_e32 v14, vcc, s4, v8
	s_mul_i32 s4, s17, s16
	v_and_b32_e32 v16, 0x3ff, v0
	v_sub_u32_e32 v0, v6, v4
	v_addc_co_u32_e32 v15, vcc, v1, v9, vcc
	s_mul_hi_i32 s0, s17, s16
	s_mul_i32 s1, s4, s3
	s_mul_hi_u32 s3, s4, s2
	v_add_u32_e32 v1, 1, v0
	s_add_i32 s1, s3, s1
	s_mul_i32 s0, s0, s2
	v_cvt_f32_i32_e32 v3, v1
	s_add_i32 s1, s1, s0
	s_mul_i32 s0, s4, s2
	s_ashr_i32 s15, s16, 31
	s_ashr_i32 s36, s17, 31
	s_lshl_b64 s[0:1], s[0:1], 1
	s_add_u32 s38, s6, s0
	s_addc_u32 s39, s7, s1
	v_bfe_u32 v4, v3, 16, 1
	s_ashr_i32 s47, s16, 31
	v_add_u32_e32 v3, v3, v4
	s_add_i32 s2, s16, s47
	v_add_u32_e32 v3, 0x7fff, v3
	s_xor_b32 s48, s2, s47
	v_and_b32_e32 v17, 0xffff0000, v3
	v_cvt_f32_u32_e32 v3, s48
	s_mov_b32 s33, s16
	v_max_i32_e32 v18, 1, v1
	v_cvt_f32_u32_e32 v1, s33
	s_brev_b32 s2, -2
	v_cmp_gt_u32_e64 s[2:3], s2, v0
	v_rcp_iflag_f32_e32 v0, v3
	v_rcp_iflag_f32_e32 v3, v1
	s_sub_i32 s4, 0, s48
	s_ashr_i32 s9, s8, 31
	v_mul_f32_e32 v0, 0x4f7ffffe, v0
	v_cvt_u32_f32_e32 v0, v0
	v_mul_f32_e32 v3, 0x4f7ffffe, v3
	v_cvt_u32_f32_e32 v3, v3
	s_mov_b32 s37, s17
	v_mul_lo_u32 v4, s4, v0
	v_mul_hi_u32 v4, v0, v4
	s_sub_i32 s4, 0, s16
	v_add_u32_e32 v19, v0, v4
	v_mul_lo_u32 v0, s4, v3
	v_mul_hi_u32 v0, v3, v0
	s_mul_i32 s40, s40, s24
	s_and_b32 s41, s11, 0xffff
	s_ashr_i32 s42, s13, 31
	s_mov_b32 s43, s13
	v_cmp_gt_i32_e64 s[0:1], s17, v16
	s_ashr_i32 s44, s14, 31
	s_movk_i32 s45, 0x7fff
	s_mov_b32 s46, 0xffff0000
	s_mov_b64 s[12:13], 0
	v_mov_b32_e32 v1, 0
	v_add_u32_e32 v20, v3, v0
	s_lshl_b64 s[18:19], s[8:9], 1
	v_mov_b32_e32 v21, 0x7fc00000
	v_mov_b32_e32 v22, 0x7fc0
	s_branch .LBB7_12
.LBB7_11:                               ;   in Loop: Header=BB7_12 Depth=1
	s_or_b64 exec, exec, s[20:21]
	v_add_u32_e32 v2, s40, v2
	v_cmp_le_i32_e32 vcc, s16, v2
	s_or_b64 s[12:13], vcc, s[12:13]
	s_andn2_b64 exec, exec, s[12:13]
	s_cbranch_execz .LBB7_54
.LBB7_12:                               ; =>This Loop Header: Depth=1
                                        ;     Child Loop BB7_27 Depth 2
                                        ;       Child Loop BB7_42 Depth 3
                                        ;         Child Loop BB7_45 Depth 4
                                        ;           Child Loop BB7_48 Depth 5
                                        ;             Child Loop BB7_50 Depth 6
	v_ashrrev_i32_e32 v3, 31, v2
	v_or_b32_e32 v5, s15, v3
	v_mov_b32_e32 v4, v1
	v_cmp_ne_u64_e32 vcc, 0, v[4:5]
                                        ; implicit-def: $vgpr4_vgpr5
	s_and_saveexec_b64 s[4:5], vcc
	s_xor_b64 s[4:5], exec, s[4:5]
	s_cbranch_execz .LBB7_14
; %bb.13:                               ;   in Loop: Header=BB7_12 Depth=1
	v_ashrrev_i32_e32 v0, 31, v2
	v_add_u32_e32 v4, v2, v0
	v_xor_b32_e32 v4, v4, v0
	v_mul_hi_u32 v5, v4, v19
	v_mul_lo_u32 v6, v5, s48
	v_sub_u32_e32 v4, v4, v6
	v_subrev_u32_e32 v6, s48, v4
	v_cmp_le_u32_e32 vcc, s48, v4
	v_cndmask_b32_e32 v4, v4, v6, vcc
	v_add_u32_e32 v6, 1, v5
	v_cndmask_b32_e32 v5, v5, v6, vcc
	v_add_u32_e32 v6, 1, v5
	v_cmp_le_u32_e32 vcc, s48, v4
	v_cndmask_b32_e32 v4, v5, v6, vcc
	v_xor_b32_e32 v0, s47, v0
	v_xor_b32_e32 v4, v4, v0
	v_sub_u32_e32 v4, v4, v0
	v_ashrrev_i32_e32 v5, 31, v4
.LBB7_14:                               ;   in Loop: Header=BB7_12 Depth=1
	s_andn2_saveexec_b64 s[4:5], s[4:5]
	s_cbranch_execz .LBB7_16
; %bb.15:                               ;   in Loop: Header=BB7_12 Depth=1
	v_mul_hi_u32 v0, v2, v20
	v_mul_lo_u32 v4, v0, s33
	v_sub_u32_e32 v4, v2, v4
	v_subrev_u32_e32 v5, s33, v4
	v_cmp_le_u32_e32 vcc, s33, v4
	v_cndmask_b32_e32 v4, v4, v5, vcc
	v_add_u32_e32 v5, 1, v0
	v_cndmask_b32_e32 v0, v0, v5, vcc
	v_add_u32_e32 v5, 1, v0
	v_cmp_le_u32_e32 vcc, s33, v4
	v_cndmask_b32_e32 v0, v0, v5, vcc
	v_pk_mov_b32 v[4:5], v[0:1], v[0:1] op_sel:[0,1]
.LBB7_16:                               ;   in Loop: Header=BB7_12 Depth=1
	s_or_b64 exec, exec, s[4:5]
	v_mul_lo_u32 v0, v5, s33
	v_mul_lo_u32 v5, v4, s15
	v_mad_u64_u32 v[6:7], s[4:5], v4, s33, 0
	v_add3_u32 v0, v7, v5, v0
	v_sub_co_u32_e32 v5, vcc, v2, v6
	v_subb_co_u32_e32 v0, vcc, v3, v0, vcc
	v_mul_lo_u32 v0, v0, s43
	v_mul_lo_u32 v6, v5, s42
	v_mad_u64_u32 v[8:9], s[4:5], v5, s43, 0
	v_add3_u32 v9, v9, v6, v0
	v_or_b32_e32 v7, s15, v9
	v_mov_b32_e32 v6, v1
	v_cmp_ne_u64_e32 vcc, 0, v[6:7]
                                        ; implicit-def: $vgpr6_vgpr7
	s_and_saveexec_b64 s[4:5], vcc
	s_xor_b64 s[6:7], exec, s[4:5]
	s_cbranch_execz .LBB7_18
; %bb.17:                               ;   in Loop: Header=BB7_12 Depth=1
	s_add_u32 s4, s33, s15
	s_mov_b32 s8, s15
	s_mov_b32 s9, s15
	s_addc_u32 s5, s15, s15
	s_xor_b64 s[10:11], s[4:5], s[8:9]
	v_cvt_f32_u32_e32 v0, s10
	v_cvt_f32_u32_e32 v5, s11
	s_sub_u32 s4, 0, s10
	s_subb_u32 s5, 0, s11
	v_mac_f32_e32 v0, 0x4f800000, v5
	v_rcp_f32_e32 v0, v0
	v_mul_f32_e32 v0, 0x5f7ffffc, v0
	v_mul_f32_e32 v5, 0x2f800000, v0
	v_trunc_f32_e32 v5, v5
	v_mac_f32_e32 v0, 0xcf800000, v5
	v_cvt_u32_f32_e32 v5, v5
	v_cvt_u32_f32_e32 v0, v0
	v_mul_lo_u32 v6, s4, v5
	v_mul_hi_u32 v10, s4, v0
	v_mul_lo_u32 v7, s5, v0
	v_add_u32_e32 v6, v10, v6
	v_mul_lo_u32 v11, s4, v0
	v_add_u32_e32 v6, v6, v7
	v_mul_lo_u32 v10, v0, v6
	v_mul_hi_u32 v12, v0, v11
	v_mul_hi_u32 v7, v0, v6
	v_add_co_u32_e32 v10, vcc, v12, v10
	v_addc_co_u32_e32 v7, vcc, 0, v7, vcc
	v_mul_hi_u32 v13, v5, v11
	v_mul_lo_u32 v11, v5, v11
	v_add_co_u32_e32 v10, vcc, v10, v11
	v_mul_hi_u32 v12, v5, v6
	v_addc_co_u32_e32 v7, vcc, v7, v13, vcc
	v_addc_co_u32_e32 v10, vcc, 0, v12, vcc
	v_mul_lo_u32 v6, v5, v6
	v_add_co_u32_e32 v6, vcc, v7, v6
	v_addc_co_u32_e32 v7, vcc, 0, v10, vcc
	v_add_co_u32_e32 v0, vcc, v0, v6
	v_addc_co_u32_e32 v5, vcc, v5, v7, vcc
	v_mul_lo_u32 v6, s4, v5
	v_mul_hi_u32 v7, s4, v0
	v_add_u32_e32 v6, v7, v6
	v_mul_lo_u32 v7, s5, v0
	v_add_u32_e32 v6, v6, v7
	v_mul_lo_u32 v10, s4, v0
	v_mul_hi_u32 v11, v5, v10
	v_mul_lo_u32 v12, v5, v10
	v_mul_lo_u32 v23, v0, v6
	v_mul_hi_u32 v10, v0, v10
	v_mul_hi_u32 v13, v0, v6
	v_add_co_u32_e32 v10, vcc, v10, v23
	v_addc_co_u32_e32 v13, vcc, 0, v13, vcc
	v_add_co_u32_e32 v10, vcc, v10, v12
	v_mul_hi_u32 v7, v5, v6
	v_addc_co_u32_e32 v10, vcc, v13, v11, vcc
	v_addc_co_u32_e32 v7, vcc, 0, v7, vcc
	v_mul_lo_u32 v6, v5, v6
	v_add_co_u32_e32 v6, vcc, v10, v6
	v_addc_co_u32_e32 v7, vcc, 0, v7, vcc
	v_add_co_u32_e32 v0, vcc, v0, v6
	v_addc_co_u32_e32 v5, vcc, v5, v7, vcc
	v_ashrrev_i32_e32 v10, 31, v9
	v_add_co_u32_e32 v6, vcc, v8, v10
	v_addc_co_u32_e32 v7, vcc, v9, v10, vcc
	v_xor_b32_e32 v12, v6, v10
	v_xor_b32_e32 v11, v7, v10
	v_mad_u64_u32 v[6:7], s[4:5], v12, v5, 0
	v_mul_hi_u32 v8, v12, v0
	v_add_co_u32_e32 v13, vcc, v8, v6
	v_addc_co_u32_e32 v23, vcc, 0, v7, vcc
	v_mad_u64_u32 v[8:9], s[4:5], v11, v0, 0
	v_add_co_u32_e32 v0, vcc, v13, v8
	v_mad_u64_u32 v[6:7], s[4:5], v11, v5, 0
	v_addc_co_u32_e32 v0, vcc, v23, v9, vcc
	v_addc_co_u32_e32 v5, vcc, 0, v7, vcc
	v_add_co_u32_e32 v0, vcc, v0, v6
	v_addc_co_u32_e32 v5, vcc, 0, v5, vcc
	v_mul_lo_u32 v8, s11, v0
	v_mul_lo_u32 v5, s10, v5
	v_mad_u64_u32 v[6:7], s[4:5], s10, v0, 0
	v_add3_u32 v5, v7, v5, v8
	v_sub_u32_e32 v7, v11, v5
	v_mov_b32_e32 v8, s11
	v_sub_co_u32_e32 v6, vcc, v12, v6
	v_subb_co_u32_e64 v7, s[4:5], v7, v8, vcc
	v_subrev_co_u32_e64 v8, s[4:5], s10, v6
	v_subbrev_co_u32_e64 v7, s[4:5], 0, v7, s[4:5]
	v_cmp_le_u32_e64 s[4:5], s11, v7
	v_subb_co_u32_e32 v5, vcc, v11, v5, vcc
	v_cndmask_b32_e64 v9, 0, -1, s[4:5]
	v_cmp_le_u32_e64 s[4:5], s10, v8
	v_cmp_le_u32_e32 vcc, s11, v5
	v_cndmask_b32_e64 v8, 0, -1, s[4:5]
	v_cmp_eq_u32_e64 s[4:5], s11, v7
	v_cndmask_b32_e64 v11, 0, -1, vcc
	v_cmp_le_u32_e32 vcc, s10, v6
	v_cndmask_b32_e64 v7, v9, v8, s[4:5]
	v_cndmask_b32_e64 v6, 0, -1, vcc
	v_cmp_eq_u32_e32 vcc, s11, v5
	v_add_co_u32_e64 v8, s[4:5], 2, v0
	v_add_co_u32_e64 v9, s[4:5], 1, v0
	v_cndmask_b32_e32 v5, v11, v6, vcc
	v_cmp_ne_u32_e32 vcc, 0, v7
	v_cndmask_b32_e32 v6, v9, v8, vcc
	v_cmp_ne_u32_e32 vcc, 0, v5
	v_cndmask_b32_e32 v0, v0, v6, vcc
	v_xor_b32_e32 v5, s8, v10
	v_xor_b32_e32 v0, v0, v5
	v_sub_co_u32_e32 v6, vcc, v0, v5
                                        ; implicit-def: $vgpr8_vgpr9
.LBB7_18:                               ;   in Loop: Header=BB7_12 Depth=1
	s_andn2_saveexec_b64 s[4:5], s[6:7]
; %bb.19:                               ;   in Loop: Header=BB7_12 Depth=1
	v_mul_hi_u32 v0, v8, v20
	v_mul_lo_u32 v5, v0, s33
	v_sub_u32_e32 v5, v8, v5
	v_subrev_u32_e32 v6, s33, v5
	v_cmp_le_u32_e32 vcc, s33, v5
	v_cndmask_b32_e32 v5, v5, v6, vcc
	v_add_u32_e32 v6, 1, v0
	v_cndmask_b32_e32 v0, v0, v6, vcc
	v_add_u32_e32 v6, 1, v0
	v_cmp_le_u32_e32 vcc, s33, v5
	v_cndmask_b32_e32 v6, v0, v6, vcc
; %bb.20:                               ;   in Loop: Header=BB7_12 Depth=1
	s_or_b64 exec, exec, s[4:5]
	v_add_co_u32_e32 v0, vcc, 1, v2
	v_addc_co_u32_e32 v3, vcc, 0, v3, vcc
	v_mul_lo_u32 v5, v0, s42
	v_mul_lo_u32 v3, v3, s43
	v_mad_u64_u32 v[8:9], s[4:5], v0, s43, -1
	v_add3_u32 v9, v3, v9, v5
	v_or_b32_e32 v11, s15, v9
	v_mov_b32_e32 v10, v1
	v_cmp_ne_u64_e32 vcc, 0, v[10:11]
                                        ; implicit-def: $vgpr10_vgpr11
	s_and_saveexec_b64 s[4:5], vcc
	s_xor_b64 s[6:7], exec, s[4:5]
	s_cbranch_execnz .LBB7_23
; %bb.21:                               ;   in Loop: Header=BB7_12 Depth=1
	s_andn2_saveexec_b64 s[4:5], s[6:7]
	s_cbranch_execnz .LBB7_24
.LBB7_22:                               ;   in Loop: Header=BB7_12 Depth=1
	s_or_b64 exec, exec, s[4:5]
	s_and_saveexec_b64 s[20:21], s[0:1]
	s_cbranch_execz .LBB7_11
	s_branch .LBB7_25
.LBB7_23:                               ;   in Loop: Header=BB7_12 Depth=1
	s_add_u32 s4, s33, s15
	s_mov_b32 s8, s15
	s_mov_b32 s9, s15
	s_addc_u32 s5, s15, s15
	s_xor_b64 s[10:11], s[4:5], s[8:9]
	v_cvt_f32_u32_e32 v0, s10
	v_cvt_f32_u32_e32 v3, s11
	s_sub_u32 s4, 0, s10
	s_subb_u32 s5, 0, s11
	v_mac_f32_e32 v0, 0x4f800000, v3
	v_rcp_f32_e32 v0, v0
	v_mul_f32_e32 v0, 0x5f7ffffc, v0
	v_mul_f32_e32 v3, 0x2f800000, v0
	v_trunc_f32_e32 v3, v3
	v_mac_f32_e32 v0, 0xcf800000, v3
	v_cvt_u32_f32_e32 v3, v3
	v_cvt_u32_f32_e32 v0, v0
	v_mul_lo_u32 v5, s4, v3
	v_mul_hi_u32 v10, s4, v0
	v_mul_lo_u32 v7, s5, v0
	v_add_u32_e32 v5, v10, v5
	v_mul_lo_u32 v11, s4, v0
	v_add_u32_e32 v5, v5, v7
	v_mul_lo_u32 v10, v0, v5
	v_mul_hi_u32 v12, v0, v11
	v_mul_hi_u32 v7, v0, v5
	v_add_co_u32_e32 v10, vcc, v12, v10
	v_addc_co_u32_e32 v7, vcc, 0, v7, vcc
	v_mul_hi_u32 v13, v3, v11
	v_mul_lo_u32 v11, v3, v11
	v_add_co_u32_e32 v10, vcc, v10, v11
	v_mul_hi_u32 v12, v3, v5
	v_addc_co_u32_e32 v7, vcc, v7, v13, vcc
	v_addc_co_u32_e32 v10, vcc, 0, v12, vcc
	v_mul_lo_u32 v5, v3, v5
	v_add_co_u32_e32 v5, vcc, v7, v5
	v_addc_co_u32_e32 v7, vcc, 0, v10, vcc
	v_add_co_u32_e32 v0, vcc, v0, v5
	v_addc_co_u32_e32 v3, vcc, v3, v7, vcc
	v_mul_lo_u32 v5, s4, v3
	v_mul_hi_u32 v7, s4, v0
	v_add_u32_e32 v5, v7, v5
	v_mul_lo_u32 v7, s5, v0
	v_add_u32_e32 v5, v5, v7
	v_mul_lo_u32 v10, s4, v0
	v_mul_hi_u32 v11, v3, v10
	v_mul_lo_u32 v12, v3, v10
	v_mul_lo_u32 v23, v0, v5
	v_mul_hi_u32 v10, v0, v10
	v_mul_hi_u32 v13, v0, v5
	v_add_co_u32_e32 v10, vcc, v10, v23
	v_addc_co_u32_e32 v13, vcc, 0, v13, vcc
	v_add_co_u32_e32 v10, vcc, v10, v12
	v_mul_hi_u32 v7, v3, v5
	v_addc_co_u32_e32 v10, vcc, v13, v11, vcc
	v_addc_co_u32_e32 v7, vcc, 0, v7, vcc
	v_mul_lo_u32 v5, v3, v5
	v_add_co_u32_e32 v5, vcc, v10, v5
	v_addc_co_u32_e32 v7, vcc, 0, v7, vcc
	v_add_co_u32_e32 v0, vcc, v0, v5
	v_addc_co_u32_e32 v3, vcc, v3, v7, vcc
	v_ashrrev_i32_e32 v5, 31, v9
	v_add_co_u32_e32 v7, vcc, v8, v5
	v_addc_co_u32_e32 v8, vcc, v9, v5, vcc
	v_xor_b32_e32 v7, v7, v5
	v_xor_b32_e32 v12, v8, v5
	v_mad_u64_u32 v[8:9], s[4:5], v7, v3, 0
	v_mul_hi_u32 v10, v7, v0
	v_add_co_u32_e32 v13, vcc, v10, v8
	v_addc_co_u32_e32 v23, vcc, 0, v9, vcc
	v_mad_u64_u32 v[10:11], s[4:5], v12, v0, 0
	v_add_co_u32_e32 v0, vcc, v13, v10
	v_mad_u64_u32 v[8:9], s[4:5], v12, v3, 0
	v_addc_co_u32_e32 v0, vcc, v23, v11, vcc
	v_addc_co_u32_e32 v3, vcc, 0, v9, vcc
	v_add_co_u32_e32 v0, vcc, v0, v8
	v_addc_co_u32_e32 v3, vcc, 0, v3, vcc
	v_mul_lo_u32 v10, s11, v0
	v_mul_lo_u32 v3, s10, v3
	v_mad_u64_u32 v[8:9], s[4:5], s10, v0, 0
	v_add3_u32 v3, v9, v3, v10
	v_sub_u32_e32 v9, v12, v3
	v_mov_b32_e32 v10, s11
	v_sub_co_u32_e32 v7, vcc, v7, v8
	v_subb_co_u32_e64 v8, s[4:5], v9, v10, vcc
	v_subrev_co_u32_e64 v9, s[4:5], s10, v7
	v_subbrev_co_u32_e64 v8, s[4:5], 0, v8, s[4:5]
	v_cmp_le_u32_e64 s[4:5], s11, v8
	v_subb_co_u32_e32 v3, vcc, v12, v3, vcc
	v_cndmask_b32_e64 v10, 0, -1, s[4:5]
	v_cmp_le_u32_e64 s[4:5], s10, v9
	v_cmp_le_u32_e32 vcc, s11, v3
	v_cndmask_b32_e64 v9, 0, -1, s[4:5]
	v_cmp_eq_u32_e64 s[4:5], s11, v8
	v_cndmask_b32_e64 v11, 0, -1, vcc
	v_cmp_le_u32_e32 vcc, s10, v7
	v_cndmask_b32_e64 v8, v10, v9, s[4:5]
	v_cndmask_b32_e64 v7, 0, -1, vcc
	v_cmp_eq_u32_e32 vcc, s11, v3
	v_add_co_u32_e64 v9, s[4:5], 2, v0
	v_add_co_u32_e64 v10, s[4:5], 1, v0
	v_cndmask_b32_e32 v3, v11, v7, vcc
	v_cmp_ne_u32_e32 vcc, 0, v8
	v_cndmask_b32_e32 v7, v10, v9, vcc
	v_cmp_ne_u32_e32 vcc, 0, v3
	v_cndmask_b32_e32 v0, v0, v7, vcc
	v_xor_b32_e32 v3, s8, v5
	v_xor_b32_e32 v0, v0, v3
	v_sub_co_u32_e32 v10, vcc, v0, v3
                                        ; implicit-def: $vgpr8_vgpr9
	s_andn2_saveexec_b64 s[4:5], s[6:7]
	s_cbranch_execz .LBB7_22
.LBB7_24:                               ;   in Loop: Header=BB7_12 Depth=1
	v_mul_hi_u32 v0, v8, v20
	v_mul_lo_u32 v3, v0, s33
	v_sub_u32_e32 v3, v8, v3
	v_subrev_u32_e32 v5, s33, v3
	v_cmp_le_u32_e32 vcc, s33, v3
	v_cndmask_b32_e32 v3, v3, v5, vcc
	v_add_u32_e32 v5, 1, v0
	v_cndmask_b32_e32 v0, v0, v5, vcc
	v_add_u32_e32 v5, 1, v0
	v_cmp_le_u32_e32 vcc, s33, v3
	v_cndmask_b32_e32 v10, v0, v5, vcc
	s_or_b64 exec, exec, s[4:5]
	s_and_saveexec_b64 s[20:21], s[0:1]
	s_cbranch_execz .LBB7_11
.LBB7_25:                               ;   in Loop: Header=BB7_12 Depth=1
	v_mad_u64_u32 v[4:5], s[4:5], v4, s43, v[6:7]
	v_sub_u32_e32 v0, v10, v4
	v_mul_lo_u32 v4, v4, s14
	v_ashrrev_i32_e32 v5, 31, v4
	v_add_u32_e32 v23, 1, v0
	v_lshlrev_b64 v[4:5], 1, v[4:5]
	v_add_co_u32_e32 v24, vcc, v14, v4
	v_mul_lo_u32 v4, v2, s17
	v_cvt_f32_i32_e32 v3, v23
	v_addc_co_u32_e32 v25, vcc, v15, v5, vcc
	v_ashrrev_i32_e32 v5, 31, v4
	v_lshlrev_b64 v[4:5], 1, v[4:5]
	v_mov_b32_e32 v0, s39
	v_add_co_u32_e32 v26, vcc, s38, v4
	v_addc_co_u32_e32 v27, vcc, v0, v5, vcc
	v_bfe_u32 v0, v3, 16, 1
	v_add3_u32 v0, v3, v0, s45
	v_and_b32_e32 v28, 0xffff0000, v0
	v_cmp_lt_i32_e64 s[4:5], 0, v23
	s_mov_b64 s[22:23], 0
	v_mov_b32_e32 v4, v16
	s_branch .LBB7_27
.LBB7_26:                               ;   in Loop: Header=BB7_27 Depth=2
	v_add_u32_e32 v4, s41, v4
	v_cmp_le_i32_e32 vcc, s17, v4
	s_or_b64 s[22:23], vcc, s[22:23]
	s_andn2_b64 exec, exec, s[22:23]
	s_cbranch_execz .LBB7_11
.LBB7_27:                               ;   Parent Loop BB7_12 Depth=1
                                        ; =>  This Loop Header: Depth=2
                                        ;       Child Loop BB7_42 Depth 3
                                        ;         Child Loop BB7_45 Depth 4
                                        ;           Child Loop BB7_48 Depth 5
                                        ;             Child Loop BB7_50 Depth 6
	v_or_b32_e64 v7, 0, s36
	v_mov_b32_e32 v6, v1
	v_mov_b32_e32 v5, v1
	v_cmp_ne_u64_e32 vcc, 0, v[6:7]
                                        ; implicit-def: $vgpr6_vgpr7
	s_and_saveexec_b64 s[6:7], vcc
	s_xor_b64 s[8:9], exec, s[6:7]
	s_cbranch_execz .LBB7_29
; %bb.28:                               ;   in Loop: Header=BB7_27 Depth=2
	s_add_u32 s6, s37, s36
	s_mov_b32 s10, s36
	s_mov_b32 s11, s36
	s_addc_u32 s7, s36, s36
	s_xor_b64 s[24:25], s[6:7], s[10:11]
	v_cvt_f32_u32_e32 v0, s24
	v_cvt_f32_u32_e32 v3, s25
	s_sub_u32 s6, 0, s24
	s_subb_u32 s7, 0, s25
	v_mac_f32_e32 v0, 0x4f800000, v3
	v_rcp_f32_e32 v0, v0
	v_mul_f32_e32 v0, 0x5f7ffffc, v0
	v_mul_f32_e32 v3, 0x2f800000, v0
	v_trunc_f32_e32 v3, v3
	v_mac_f32_e32 v0, 0xcf800000, v3
	v_cvt_u32_f32_e32 v3, v3
	v_cvt_u32_f32_e32 v0, v0
	v_mul_lo_u32 v6, s6, v3
	v_mul_hi_u32 v8, s6, v0
	v_mul_lo_u32 v7, s7, v0
	v_add_u32_e32 v6, v8, v6
	v_mul_lo_u32 v9, s6, v0
	v_add_u32_e32 v6, v6, v7
	v_mul_lo_u32 v8, v0, v6
	v_mul_hi_u32 v10, v0, v9
	v_mul_hi_u32 v7, v0, v6
	v_add_co_u32_e32 v8, vcc, v10, v8
	v_addc_co_u32_e32 v7, vcc, 0, v7, vcc
	v_mul_hi_u32 v11, v3, v9
	v_mul_lo_u32 v9, v3, v9
	v_add_co_u32_e32 v8, vcc, v8, v9
	v_mul_hi_u32 v10, v3, v6
	v_addc_co_u32_e32 v7, vcc, v7, v11, vcc
	v_addc_co_u32_e32 v8, vcc, 0, v10, vcc
	v_mul_lo_u32 v6, v3, v6
	v_add_co_u32_e32 v6, vcc, v7, v6
	v_addc_co_u32_e32 v7, vcc, 0, v8, vcc
	v_add_co_u32_e32 v0, vcc, v0, v6
	v_addc_co_u32_e32 v3, vcc, v3, v7, vcc
	v_mul_lo_u32 v6, s6, v3
	v_mul_hi_u32 v7, s6, v0
	v_add_u32_e32 v6, v7, v6
	v_mul_lo_u32 v7, s7, v0
	v_add_u32_e32 v6, v6, v7
	v_mul_lo_u32 v8, s6, v0
	v_mul_hi_u32 v9, v3, v8
	v_mul_lo_u32 v10, v3, v8
	v_mul_lo_u32 v12, v0, v6
	v_mul_hi_u32 v8, v0, v8
	v_mul_hi_u32 v11, v0, v6
	v_add_co_u32_e32 v8, vcc, v8, v12
	v_addc_co_u32_e32 v11, vcc, 0, v11, vcc
	v_add_co_u32_e32 v8, vcc, v8, v10
	v_mul_hi_u32 v7, v3, v6
	v_addc_co_u32_e32 v8, vcc, v11, v9, vcc
	v_addc_co_u32_e32 v7, vcc, 0, v7, vcc
	v_mul_lo_u32 v6, v3, v6
	v_add_co_u32_e32 v6, vcc, v8, v6
	v_addc_co_u32_e32 v7, vcc, 0, v7, vcc
	v_add_co_u32_e32 v0, vcc, v0, v6
	v_addc_co_u32_e32 v3, vcc, v3, v7, vcc
	v_ashrrev_i32_e64 v10, 31, 0
	v_add_co_u32_e32 v6, vcc, v4, v10
	v_addc_co_u32_e32 v7, vcc, 0, v10, vcc
	v_xor_b32_e32 v12, v6, v10
	v_xor_b32_e32 v11, v7, v10
	v_mad_u64_u32 v[6:7], s[6:7], v12, v3, 0
	v_mul_hi_u32 v8, v12, v0
	v_add_co_u32_e32 v13, vcc, v8, v6
	v_addc_co_u32_e32 v29, vcc, 0, v7, vcc
	v_mad_u64_u32 v[8:9], s[6:7], v11, v0, 0
	v_add_co_u32_e32 v0, vcc, v13, v8
	v_mad_u64_u32 v[6:7], s[6:7], v11, v3, 0
	v_addc_co_u32_e32 v0, vcc, v29, v9, vcc
	v_addc_co_u32_e32 v3, vcc, 0, v7, vcc
	v_add_co_u32_e32 v0, vcc, v0, v6
	v_addc_co_u32_e32 v3, vcc, 0, v3, vcc
	v_mul_lo_u32 v8, s25, v0
	v_mul_lo_u32 v9, s24, v3
	v_mad_u64_u32 v[6:7], s[6:7], s24, v0, 0
	v_add3_u32 v7, v7, v9, v8
	v_sub_u32_e32 v8, v11, v7
	v_mov_b32_e32 v9, s25
	v_sub_co_u32_e32 v6, vcc, v12, v6
	v_subb_co_u32_e64 v8, s[6:7], v8, v9, vcc
	v_subrev_co_u32_e64 v9, s[6:7], s24, v6
	v_subbrev_co_u32_e64 v8, s[6:7], 0, v8, s[6:7]
	v_cmp_le_u32_e64 s[6:7], s25, v8
	v_cndmask_b32_e64 v12, 0, -1, s[6:7]
	v_cmp_le_u32_e64 s[6:7], s24, v9
	v_cndmask_b32_e64 v9, 0, -1, s[6:7]
	v_cmp_eq_u32_e64 s[6:7], s25, v8
	v_cndmask_b32_e64 v8, v12, v9, s[6:7]
	v_add_co_u32_e64 v9, s[6:7], 2, v0
	v_subb_co_u32_e32 v7, vcc, v11, v7, vcc
	v_addc_co_u32_e64 v12, s[6:7], 0, v3, s[6:7]
	v_cmp_le_u32_e32 vcc, s25, v7
	v_add_co_u32_e64 v13, s[6:7], 1, v0
	v_cndmask_b32_e64 v11, 0, -1, vcc
	v_cmp_le_u32_e32 vcc, s24, v6
	v_addc_co_u32_e64 v29, s[6:7], 0, v3, s[6:7]
	v_cndmask_b32_e64 v6, 0, -1, vcc
	v_cmp_eq_u32_e32 vcc, s25, v7
	v_cmp_ne_u32_e64 s[6:7], 0, v8
	v_cndmask_b32_e32 v6, v11, v6, vcc
	v_cmp_ne_u32_e32 vcc, 0, v6
	v_cndmask_b32_e64 v6, v13, v9, s[6:7]
	v_cndmask_b32_e64 v8, v29, v12, s[6:7]
	v_cndmask_b32_e32 v0, v0, v6, vcc
	v_xor_b32_e32 v6, s10, v10
	v_cndmask_b32_e32 v3, v3, v8, vcc
	v_xor_b32_e32 v7, s11, v10
	v_xor_b32_e32 v0, v0, v6
	;; [unrolled: 1-line block ×3, first 2 shown]
	v_sub_co_u32_e32 v6, vcc, v0, v6
	v_subb_co_u32_e32 v7, vcc, v3, v7, vcc
.LBB7_29:                               ;   in Loop: Header=BB7_27 Depth=2
	s_or_saveexec_b64 s[6:7], s[8:9]
	v_cvt_f32_u32_e32 v3, s37
	s_xor_b64 exec, exec, s[6:7]
	s_cbranch_execz .LBB7_31
; %bb.30:                               ;   in Loop: Header=BB7_27 Depth=2
	v_rcp_iflag_f32_e32 v0, v3
	s_sub_i32 s8, 0, s37
	v_mul_f32_e32 v0, 0x4f7ffffe, v0
	v_cvt_u32_f32_e32 v0, v0
	v_mul_lo_u32 v6, s8, v0
	v_mul_hi_u32 v6, v0, v6
	v_add_u32_e32 v0, v0, v6
	v_mul_hi_u32 v0, v4, v0
	v_mul_lo_u32 v6, v0, s37
	v_sub_u32_e32 v6, v4, v6
	v_add_u32_e32 v7, 1, v0
	v_subrev_u32_e32 v8, s37, v6
	v_cmp_le_u32_e32 vcc, s37, v6
	v_cndmask_b32_e32 v6, v6, v8, vcc
	v_cndmask_b32_e32 v0, v0, v7, vcc
	v_add_u32_e32 v7, 1, v0
	v_cmp_le_u32_e32 vcc, s37, v6
	v_cndmask_b32_e32 v0, v0, v7, vcc
	v_pk_mov_b32 v[6:7], v[0:1], v[0:1] op_sel:[0,1]
.LBB7_31:                               ;   in Loop: Header=BB7_27 Depth=2
	s_or_b64 exec, exec, s[6:7]
	v_mul_lo_u32 v0, v7, s37
	v_mul_lo_u32 v7, v6, s36
	v_mad_u64_u32 v[8:9], s[6:7], v6, s37, 0
	v_add3_u32 v0, v9, v7, v0
	v_sub_co_u32_e32 v7, vcc, v4, v8
	v_subb_co_u32_e32 v0, vcc, 0, v0, vcc
	v_mul_lo_u32 v0, v0, s14
	v_mul_lo_u32 v8, v7, s44
	v_mad_u64_u32 v[10:11], s[6:7], v7, s14, 0
	v_add3_u32 v11, v11, v8, v0
	v_or_b32_e32 v9, s36, v11
	v_mov_b32_e32 v8, v1
	v_cmp_ne_u64_e32 vcc, 0, v[8:9]
                                        ; implicit-def: $vgpr8_vgpr9
	s_and_saveexec_b64 s[6:7], vcc
	s_xor_b64 s[8:9], exec, s[6:7]
	s_cbranch_execz .LBB7_33
; %bb.32:                               ;   in Loop: Header=BB7_27 Depth=2
	s_add_u32 s6, s37, s36
	s_mov_b32 s10, s36
	s_mov_b32 s11, s36
	s_addc_u32 s7, s36, s36
	s_xor_b64 s[24:25], s[6:7], s[10:11]
	v_cvt_f32_u32_e32 v0, s24
	v_cvt_f32_u32_e32 v7, s25
	s_sub_u32 s6, 0, s24
	s_subb_u32 s7, 0, s25
	v_mac_f32_e32 v0, 0x4f800000, v7
	v_rcp_f32_e32 v0, v0
	v_mul_f32_e32 v0, 0x5f7ffffc, v0
	v_mul_f32_e32 v7, 0x2f800000, v0
	v_trunc_f32_e32 v7, v7
	v_mac_f32_e32 v0, 0xcf800000, v7
	v_cvt_u32_f32_e32 v7, v7
	v_cvt_u32_f32_e32 v0, v0
	v_mul_lo_u32 v8, s6, v7
	v_mul_hi_u32 v12, s6, v0
	v_mul_lo_u32 v9, s7, v0
	v_add_u32_e32 v8, v12, v8
	v_mul_lo_u32 v13, s6, v0
	v_add_u32_e32 v8, v8, v9
	v_mul_lo_u32 v12, v0, v8
	v_mul_hi_u32 v29, v0, v13
	v_mul_hi_u32 v9, v0, v8
	v_add_co_u32_e32 v12, vcc, v29, v12
	v_addc_co_u32_e32 v9, vcc, 0, v9, vcc
	v_mul_hi_u32 v30, v7, v13
	v_mul_lo_u32 v13, v7, v13
	v_add_co_u32_e32 v12, vcc, v12, v13
	v_mul_hi_u32 v29, v7, v8
	v_addc_co_u32_e32 v9, vcc, v9, v30, vcc
	v_addc_co_u32_e32 v12, vcc, 0, v29, vcc
	v_mul_lo_u32 v8, v7, v8
	v_add_co_u32_e32 v8, vcc, v9, v8
	v_addc_co_u32_e32 v9, vcc, 0, v12, vcc
	v_add_co_u32_e32 v0, vcc, v0, v8
	v_addc_co_u32_e32 v7, vcc, v7, v9, vcc
	v_mul_lo_u32 v8, s6, v7
	v_mul_hi_u32 v9, s6, v0
	v_add_u32_e32 v8, v9, v8
	v_mul_lo_u32 v9, s7, v0
	v_add_u32_e32 v8, v8, v9
	v_mul_lo_u32 v12, s6, v0
	v_mul_hi_u32 v13, v7, v12
	v_mul_lo_u32 v29, v7, v12
	v_mul_lo_u32 v31, v0, v8
	v_mul_hi_u32 v12, v0, v12
	v_mul_hi_u32 v30, v0, v8
	v_add_co_u32_e32 v12, vcc, v12, v31
	v_addc_co_u32_e32 v30, vcc, 0, v30, vcc
	v_add_co_u32_e32 v12, vcc, v12, v29
	v_mul_hi_u32 v9, v7, v8
	v_addc_co_u32_e32 v12, vcc, v30, v13, vcc
	v_addc_co_u32_e32 v9, vcc, 0, v9, vcc
	v_mul_lo_u32 v8, v7, v8
	v_add_co_u32_e32 v8, vcc, v12, v8
	v_addc_co_u32_e32 v9, vcc, 0, v9, vcc
	v_add_co_u32_e32 v0, vcc, v0, v8
	v_addc_co_u32_e32 v7, vcc, v7, v9, vcc
	v_ashrrev_i32_e32 v12, 31, v11
	v_add_co_u32_e32 v8, vcc, v10, v12
	v_addc_co_u32_e32 v9, vcc, v11, v12, vcc
	v_xor_b32_e32 v29, v8, v12
	v_xor_b32_e32 v13, v9, v12
	v_mad_u64_u32 v[8:9], s[6:7], v29, v7, 0
	v_mul_hi_u32 v10, v29, v0
	v_add_co_u32_e32 v30, vcc, v10, v8
	v_addc_co_u32_e32 v31, vcc, 0, v9, vcc
	v_mad_u64_u32 v[10:11], s[6:7], v13, v0, 0
	v_add_co_u32_e32 v0, vcc, v30, v10
	v_mad_u64_u32 v[8:9], s[6:7], v13, v7, 0
	v_addc_co_u32_e32 v0, vcc, v31, v11, vcc
	v_addc_co_u32_e32 v7, vcc, 0, v9, vcc
	v_add_co_u32_e32 v0, vcc, v0, v8
	v_addc_co_u32_e32 v7, vcc, 0, v7, vcc
	v_mul_lo_u32 v10, s25, v0
	v_mul_lo_u32 v11, s24, v7
	v_mad_u64_u32 v[8:9], s[6:7], s24, v0, 0
	v_add3_u32 v9, v9, v11, v10
	v_sub_u32_e32 v10, v13, v9
	v_mov_b32_e32 v11, s25
	v_sub_co_u32_e32 v8, vcc, v29, v8
	v_subb_co_u32_e64 v10, s[6:7], v10, v11, vcc
	v_subrev_co_u32_e64 v11, s[6:7], s24, v8
	v_subbrev_co_u32_e64 v10, s[6:7], 0, v10, s[6:7]
	v_cmp_le_u32_e64 s[6:7], s25, v10
	v_cndmask_b32_e64 v29, 0, -1, s[6:7]
	v_cmp_le_u32_e64 s[6:7], s24, v11
	v_cndmask_b32_e64 v11, 0, -1, s[6:7]
	v_cmp_eq_u32_e64 s[6:7], s25, v10
	v_cndmask_b32_e64 v10, v29, v11, s[6:7]
	v_add_co_u32_e64 v11, s[6:7], 2, v0
	v_subb_co_u32_e32 v9, vcc, v13, v9, vcc
	v_addc_co_u32_e64 v29, s[6:7], 0, v7, s[6:7]
	v_cmp_le_u32_e32 vcc, s25, v9
	v_add_co_u32_e64 v30, s[6:7], 1, v0
	v_cndmask_b32_e64 v13, 0, -1, vcc
	v_cmp_le_u32_e32 vcc, s24, v8
	v_addc_co_u32_e64 v31, s[6:7], 0, v7, s[6:7]
	v_cndmask_b32_e64 v8, 0, -1, vcc
	v_cmp_eq_u32_e32 vcc, s25, v9
	v_cmp_ne_u32_e64 s[6:7], 0, v10
	v_cndmask_b32_e32 v8, v13, v8, vcc
	v_cmp_ne_u32_e32 vcc, 0, v8
	v_cndmask_b32_e64 v8, v30, v11, s[6:7]
	v_cndmask_b32_e64 v10, v31, v29, s[6:7]
	v_cndmask_b32_e32 v0, v0, v8, vcc
	v_xor_b32_e32 v8, s10, v12
	v_cndmask_b32_e32 v7, v7, v10, vcc
	v_xor_b32_e32 v9, s11, v12
	v_xor_b32_e32 v0, v0, v8
	;; [unrolled: 1-line block ×3, first 2 shown]
	v_sub_co_u32_e32 v8, vcc, v0, v8
	v_subb_co_u32_e32 v9, vcc, v7, v9, vcc
                                        ; implicit-def: $vgpr10_vgpr11
.LBB7_33:                               ;   in Loop: Header=BB7_27 Depth=2
	s_andn2_saveexec_b64 s[6:7], s[8:9]
	s_cbranch_execz .LBB7_35
; %bb.34:                               ;   in Loop: Header=BB7_27 Depth=2
	v_rcp_iflag_f32_e32 v0, v3
	s_sub_i32 s8, 0, s37
	v_mul_f32_e32 v0, 0x4f7ffffe, v0
	v_cvt_u32_f32_e32 v0, v0
	v_mul_lo_u32 v7, s8, v0
	v_mul_hi_u32 v7, v0, v7
	v_add_u32_e32 v0, v0, v7
	v_mul_hi_u32 v0, v10, v0
	v_mul_lo_u32 v7, v0, s37
	v_sub_u32_e32 v7, v10, v7
	v_add_u32_e32 v8, 1, v0
	v_subrev_u32_e32 v9, s37, v7
	v_cmp_le_u32_e32 vcc, s37, v7
	v_cndmask_b32_e32 v7, v7, v9, vcc
	v_cndmask_b32_e32 v0, v0, v8, vcc
	v_add_u32_e32 v8, 1, v0
	v_cmp_le_u32_e32 vcc, s37, v7
	v_cndmask_b32_e32 v0, v0, v8, vcc
	v_pk_mov_b32 v[8:9], v[0:1], v[0:1] op_sel:[0,1]
.LBB7_35:                               ;   in Loop: Header=BB7_27 Depth=2
	s_or_b64 exec, exec, s[6:7]
	v_add_co_u32_e32 v0, vcc, 1, v4
	v_addc_co_u32_e64 v7, s[6:7], 0, 0, vcc
	v_mul_lo_u32 v12, v0, s44
	v_mul_lo_u32 v7, v7, s14
	v_mad_u64_u32 v[10:11], s[6:7], v0, s14, -1
	v_add3_u32 v11, v7, v11, v12
	v_or_b32_e32 v13, s36, v11
	v_mov_b32_e32 v12, v1
	v_cmp_ne_u64_e32 vcc, 0, v[12:13]
                                        ; implicit-def: $vgpr12_vgpr13
	s_and_saveexec_b64 s[6:7], vcc
	s_xor_b64 s[8:9], exec, s[6:7]
	s_cbranch_execnz .LBB7_38
; %bb.36:                               ;   in Loop: Header=BB7_27 Depth=2
	s_andn2_saveexec_b64 s[6:7], s[8:9]
	s_cbranch_execnz .LBB7_39
.LBB7_37:                               ;   in Loop: Header=BB7_27 Depth=2
	s_or_b64 exec, exec, s[6:7]
	s_andn2_b64 vcc, exec, s[2:3]
	s_cbranch_vccnz .LBB7_26
	s_branch .LBB7_40
.LBB7_38:                               ;   in Loop: Header=BB7_27 Depth=2
	s_add_u32 s6, s37, s36
	s_mov_b32 s10, s36
	s_mov_b32 s11, s36
	s_addc_u32 s7, s36, s36
	s_xor_b64 s[24:25], s[6:7], s[10:11]
	v_cvt_f32_u32_e32 v0, s24
	v_cvt_f32_u32_e32 v3, s25
	s_sub_u32 s6, 0, s24
	s_subb_u32 s7, 0, s25
	v_mac_f32_e32 v0, 0x4f800000, v3
	v_rcp_f32_e32 v0, v0
	v_mul_f32_e32 v0, 0x5f7ffffc, v0
	v_mul_f32_e32 v3, 0x2f800000, v0
	v_trunc_f32_e32 v3, v3
	v_mac_f32_e32 v0, 0xcf800000, v3
	v_cvt_u32_f32_e32 v3, v3
	v_cvt_u32_f32_e32 v0, v0
	v_mul_lo_u32 v7, s6, v3
	v_mul_hi_u32 v13, s6, v0
	v_mul_lo_u32 v12, s7, v0
	v_add_u32_e32 v7, v13, v7
	v_mul_lo_u32 v29, s6, v0
	v_add_u32_e32 v7, v7, v12
	v_mul_lo_u32 v13, v0, v7
	v_mul_hi_u32 v30, v0, v29
	v_mul_hi_u32 v12, v0, v7
	v_add_co_u32_e32 v13, vcc, v30, v13
	v_addc_co_u32_e32 v12, vcc, 0, v12, vcc
	v_mul_hi_u32 v31, v3, v29
	v_mul_lo_u32 v29, v3, v29
	v_add_co_u32_e32 v13, vcc, v13, v29
	v_mul_hi_u32 v30, v3, v7
	v_addc_co_u32_e32 v12, vcc, v12, v31, vcc
	v_addc_co_u32_e32 v13, vcc, 0, v30, vcc
	v_mul_lo_u32 v7, v3, v7
	v_add_co_u32_e32 v7, vcc, v12, v7
	v_addc_co_u32_e32 v12, vcc, 0, v13, vcc
	v_add_co_u32_e32 v0, vcc, v0, v7
	v_addc_co_u32_e32 v3, vcc, v3, v12, vcc
	v_mul_lo_u32 v7, s6, v3
	v_mul_hi_u32 v12, s6, v0
	v_add_u32_e32 v7, v12, v7
	v_mul_lo_u32 v12, s7, v0
	v_add_u32_e32 v7, v7, v12
	v_mul_lo_u32 v13, s6, v0
	v_mul_hi_u32 v29, v3, v13
	v_mul_lo_u32 v30, v3, v13
	v_mul_lo_u32 v32, v0, v7
	v_mul_hi_u32 v13, v0, v13
	v_mul_hi_u32 v31, v0, v7
	v_add_co_u32_e32 v13, vcc, v13, v32
	v_addc_co_u32_e32 v31, vcc, 0, v31, vcc
	v_add_co_u32_e32 v13, vcc, v13, v30
	v_mul_hi_u32 v12, v3, v7
	v_addc_co_u32_e32 v13, vcc, v31, v29, vcc
	v_addc_co_u32_e32 v12, vcc, 0, v12, vcc
	v_mul_lo_u32 v7, v3, v7
	v_add_co_u32_e32 v7, vcc, v13, v7
	v_addc_co_u32_e32 v12, vcc, 0, v12, vcc
	v_add_co_u32_e32 v0, vcc, v0, v7
	v_addc_co_u32_e32 v3, vcc, v3, v12, vcc
	v_ashrrev_i32_e32 v7, 31, v11
	v_add_co_u32_e32 v10, vcc, v10, v7
	v_addc_co_u32_e32 v11, vcc, v11, v7, vcc
	v_xor_b32_e32 v30, v10, v7
	v_xor_b32_e32 v29, v11, v7
	v_mad_u64_u32 v[10:11], s[6:7], v30, v3, 0
	v_mul_hi_u32 v12, v30, v0
	v_add_co_u32_e32 v31, vcc, v12, v10
	v_addc_co_u32_e32 v32, vcc, 0, v11, vcc
	v_mad_u64_u32 v[12:13], s[6:7], v29, v0, 0
	v_add_co_u32_e32 v0, vcc, v31, v12
	v_mad_u64_u32 v[10:11], s[6:7], v29, v3, 0
	v_addc_co_u32_e32 v0, vcc, v32, v13, vcc
	v_addc_co_u32_e32 v3, vcc, 0, v11, vcc
	v_add_co_u32_e32 v0, vcc, v0, v10
	v_addc_co_u32_e32 v3, vcc, 0, v3, vcc
	v_mul_lo_u32 v12, s25, v0
	v_mul_lo_u32 v3, s24, v3
	v_mad_u64_u32 v[10:11], s[6:7], s24, v0, 0
	v_add3_u32 v3, v11, v3, v12
	v_sub_u32_e32 v11, v29, v3
	v_mov_b32_e32 v12, s25
	v_sub_co_u32_e32 v10, vcc, v30, v10
	v_subb_co_u32_e64 v11, s[6:7], v11, v12, vcc
	v_subrev_co_u32_e64 v12, s[6:7], s24, v10
	v_subbrev_co_u32_e64 v11, s[6:7], 0, v11, s[6:7]
	v_cmp_le_u32_e64 s[6:7], s25, v11
	v_subb_co_u32_e32 v3, vcc, v29, v3, vcc
	v_cndmask_b32_e64 v13, 0, -1, s[6:7]
	v_cmp_le_u32_e64 s[6:7], s24, v12
	v_cmp_le_u32_e32 vcc, s25, v3
	v_cndmask_b32_e64 v12, 0, -1, s[6:7]
	v_cmp_eq_u32_e64 s[6:7], s25, v11
	v_cndmask_b32_e64 v29, 0, -1, vcc
	v_cmp_le_u32_e32 vcc, s24, v10
	v_cndmask_b32_e64 v11, v13, v12, s[6:7]
	v_cndmask_b32_e64 v10, 0, -1, vcc
	v_cmp_eq_u32_e32 vcc, s25, v3
	v_add_co_u32_e64 v12, s[6:7], 2, v0
	v_add_co_u32_e64 v13, s[6:7], 1, v0
	v_cndmask_b32_e32 v3, v29, v10, vcc
	v_cmp_ne_u32_e32 vcc, 0, v11
	v_cndmask_b32_e32 v10, v13, v12, vcc
	v_cmp_ne_u32_e32 vcc, 0, v3
	v_cndmask_b32_e32 v0, v0, v10, vcc
	v_xor_b32_e32 v3, s10, v7
	v_xor_b32_e32 v0, v0, v3
	v_sub_co_u32_e32 v12, vcc, v0, v3
                                        ; implicit-def: $vgpr3
                                        ; implicit-def: $vgpr10_vgpr11
	s_andn2_saveexec_b64 s[6:7], s[8:9]
	s_cbranch_execz .LBB7_37
.LBB7_39:                               ;   in Loop: Header=BB7_27 Depth=2
	v_rcp_iflag_f32_e32 v0, v3
	s_sub_i32 s8, 0, s37
	v_mul_f32_e32 v0, 0x4f7ffffe, v0
	v_cvt_u32_f32_e32 v0, v0
	v_mul_lo_u32 v3, s8, v0
	v_mul_hi_u32 v3, v0, v3
	v_add_u32_e32 v0, v0, v3
	v_mul_hi_u32 v0, v10, v0
	v_mul_lo_u32 v3, v0, s37
	v_sub_u32_e32 v3, v10, v3
	v_add_u32_e32 v7, 1, v0
	v_subrev_u32_e32 v10, s37, v3
	v_cmp_le_u32_e32 vcc, s37, v3
	v_cndmask_b32_e32 v3, v3, v10, vcc
	v_cndmask_b32_e32 v0, v0, v7, vcc
	v_add_u32_e32 v7, 1, v0
	v_cmp_le_u32_e32 vcc, s37, v3
	v_cndmask_b32_e32 v12, v0, v7, vcc
	s_or_b64 exec, exec, s[6:7]
	s_andn2_b64 vcc, exec, s[2:3]
	s_cbranch_vccnz .LBB7_26
.LBB7_40:                               ;   in Loop: Header=BB7_27 Depth=2
	v_lshlrev_b64 v[10:11], 1, v[4:5]
	v_add_co_u32_e32 v10, vcc, v26, v10
	v_addc_co_u32_e32 v11, vcc, v27, v11, vcc
	global_load_ushort v0, v[10:11], off
	v_mad_u64_u32 v[6:7], s[6:7], v6, s14, v[8:9]
	v_mov_b32_e32 v8, v1
	v_sub_u32_e32 v3, v12, v6
	v_mov_b32_e32 v9, v6
	v_add_u32_e32 v5, 1, v3
	v_ashrrev_i64 v[6:7], 31, v[8:9]
	v_cvt_f32_i32_e32 v8, v5
	v_add_co_u32_e32 v6, vcc, v24, v6
	v_addc_co_u32_e32 v3, vcc, v25, v7, vcc
	v_bfe_u32 v7, v8, 16, 1
	v_add3_u32 v7, v8, v7, s45
	v_and_b32_e32 v7, 0xffff0000, v7
	s_mov_b32 s49, 0
	s_waitcnt vmcnt(0)
	v_lshlrev_b32_e32 v0, 16, v0
	v_div_scale_f32 v9, s[6:7], v17, v17, v0
	v_rcp_f32_e32 v10, v9
	v_div_scale_f32 v8, vcc, v0, v17, v0
	v_fma_f32 v11, -v9, v10, 1.0
	v_fmac_f32_e32 v10, v11, v10
	v_mul_f32_e32 v11, v8, v10
	v_fma_f32 v12, -v9, v11, v8
	v_fmac_f32_e32 v11, v12, v10
	v_fma_f32 v8, -v9, v11, v8
	v_div_fmas_f32 v8, v8, v10, v11
	v_div_fixup_f32 v0, v8, v17, v0
	v_bfe_u32 v8, v0, 16, 1
	v_add3_u32 v8, v0, v8, s45
	v_and_b32_e32 v8, 0xffff0000, v8
	v_cmp_o_f32_e32 vcc, v0, v0
	v_cndmask_b32_e32 v0, v21, v8, vcc
	v_div_scale_f32 v8, s[6:7], v28, v28, v0
	v_rcp_f32_e32 v9, v8
	v_div_scale_f32 v10, vcc, v0, v28, v0
	v_fma_f32 v11, -v8, v9, 1.0
	v_fmac_f32_e32 v9, v11, v9
	v_mul_f32_e32 v11, v10, v9
	v_fma_f32 v12, -v8, v11, v10
	v_fmac_f32_e32 v11, v12, v9
	v_fma_f32 v8, -v8, v11, v10
	v_div_fmas_f32 v8, v8, v9, v11
	v_div_fixup_f32 v0, v8, v28, v0
	v_bfe_u32 v8, v0, 16, 1
	v_add3_u32 v8, v0, v8, s45
	v_and_b32_e32 v8, 0xffff0000, v8
	v_cmp_o_f32_e32 vcc, v0, v0
	v_cndmask_b32_e32 v0, v21, v8, vcc
	v_div_scale_f32 v8, s[6:7], v7, v7, v0
	v_rcp_f32_e32 v9, v8
	v_div_scale_f32 v10, vcc, v0, v7, v0
	v_cmp_lt_i32_e64 s[6:7], 0, v5
	v_fma_f32 v11, -v8, v9, 1.0
	v_fmac_f32_e32 v9, v11, v9
	v_mul_f32_e32 v11, v10, v9
	v_fma_f32 v12, -v8, v11, v10
	v_fmac_f32_e32 v11, v12, v9
	v_fma_f32 v8, -v8, v11, v10
	v_div_fmas_f32 v8, v8, v9, v11
	v_div_fixup_f32 v0, v8, v7, v0
	v_bfe_u32 v7, v0, 16, 1
	v_add3_u32 v7, v0, v7, s45
	v_and_b32_e32 v7, 0xffff0000, v7
	v_cmp_o_f32_e32 vcc, v0, v0
	v_cndmask_b32_e32 v7, v21, v7, vcc
	s_branch .LBB7_42
.LBB7_41:                               ;   in Loop: Header=BB7_42 Depth=3
	s_or_b64 exec, exec, s[24:25]
	s_add_i32 s49, s49, 1
	v_mov_b32_e32 v0, s19
	v_cmp_ne_u32_e32 vcc, s49, v18
	v_add_co_u32_e64 v6, s[8:9], s18, v6
	v_addc_co_u32_e64 v3, s[8:9], v3, v0, s[8:9]
	s_cbranch_vccz .LBB7_26
.LBB7_42:                               ;   Parent Loop BB7_12 Depth=1
                                        ;     Parent Loop BB7_27 Depth=2
                                        ; =>    This Loop Header: Depth=3
                                        ;         Child Loop BB7_45 Depth 4
                                        ;           Child Loop BB7_48 Depth 5
                                        ;             Child Loop BB7_50 Depth 6
	s_and_saveexec_b64 s[24:25], s[4:5]
	s_cbranch_execz .LBB7_41
; %bb.43:                               ;   in Loop: Header=BB7_42 Depth=3
	s_mov_b32 s50, 0
	s_mov_b64 s[26:27], 0
	s_branch .LBB7_45
.LBB7_44:                               ;   in Loop: Header=BB7_45 Depth=4
	s_or_b64 exec, exec, s[28:29]
	s_add_i32 s50, s50, 1
	v_cmp_ge_i32_e32 vcc, s50, v23
	s_or_b64 s[26:27], vcc, s[26:27]
	s_andn2_b64 exec, exec, s[26:27]
	s_cbranch_execz .LBB7_41
.LBB7_45:                               ;   Parent Loop BB7_12 Depth=1
                                        ;     Parent Loop BB7_27 Depth=2
                                        ;       Parent Loop BB7_42 Depth=3
                                        ; =>      This Loop Header: Depth=4
                                        ;           Child Loop BB7_48 Depth 5
                                        ;             Child Loop BB7_50 Depth 6
	s_and_saveexec_b64 s[28:29], s[6:7]
	s_cbranch_execz .LBB7_44
; %bb.46:                               ;   in Loop: Header=BB7_45 Depth=4
	s_mul_i32 s51, s50, s14
	s_mov_b32 s52, 0
	s_mov_b64 s[30:31], 0
	s_branch .LBB7_48
.LBB7_47:                               ;   in Loop: Header=BB7_48 Depth=5
	s_or_b64 exec, exec, s[34:35]
	s_add_i32 s52, s52, 1
	v_cmp_ge_i32_e32 vcc, s52, v5
	s_or_b64 s[30:31], vcc, s[30:31]
	s_andn2_b64 exec, exec, s[30:31]
	s_cbranch_execz .LBB7_44
.LBB7_48:                               ;   Parent Loop BB7_12 Depth=1
                                        ;     Parent Loop BB7_27 Depth=2
                                        ;       Parent Loop BB7_42 Depth=3
                                        ;         Parent Loop BB7_45 Depth=4
                                        ; =>        This Loop Header: Depth=5
                                        ;             Child Loop BB7_50 Depth 6
	s_add_i32 s8, s52, s51
	s_ashr_i32 s9, s8, 31
	s_lshl_b64 s[8:9], s[8:9], 1
	v_mov_b32_e32 v0, s9
	v_add_co_u32_e32 v10, vcc, s8, v6
	v_addc_co_u32_e32 v9, vcc, v3, v0, vcc
	v_and_b32_e32 v8, -3, v10
	global_load_dword v11, v[8:9], off
	v_and_b32_e32 v0, 2, v10
	v_cmp_eq_u64_e32 vcc, 0, v[0:1]
	v_cmp_ne_u32_e64 s[8:9], 0, v0
	s_mov_b64 s[34:35], 0
	s_branch .LBB7_50
.LBB7_49:                               ;   in Loop: Header=BB7_50 Depth=6
	s_or_b64 exec, exec, s[10:11]
	global_atomic_cmpswap v0, v[8:9], v[10:11], off glc
	s_waitcnt vmcnt(0)
	v_cmp_eq_u32_e64 s[10:11], v11, v0
	s_or_b64 s[34:35], s[10:11], s[34:35]
	v_mov_b32_e32 v11, v0
	s_andn2_b64 exec, exec, s[34:35]
	s_cbranch_execz .LBB7_47
.LBB7_50:                               ;   Parent Loop BB7_12 Depth=1
                                        ;     Parent Loop BB7_27 Depth=2
                                        ;       Parent Loop BB7_42 Depth=3
                                        ;         Parent Loop BB7_45 Depth=4
                                        ;           Parent Loop BB7_48 Depth=5
                                        ; =>          This Inner Loop Header: Depth=6
	s_waitcnt vmcnt(0)
	v_lshrrev_b32_e32 v0, 16, v11
	v_cndmask_b32_e32 v0, v0, v11, vcc
	v_lshlrev_b32_e32 v0, 16, v0
	v_add_f32_e32 v0, v7, v0
	v_bfe_u32 v10, v0, 16, 1
	v_add3_u32 v10, v0, v10, s45
	v_lshrrev_b32_e32 v10, 16, v10
	v_cmp_o_f32_e64 s[10:11], v0, v0
	v_cndmask_b32_e64 v0, v22, v10, s[10:11]
	s_and_saveexec_b64 s[10:11], s[8:9]
	s_xor_b64 s[10:11], exec, s[10:11]
; %bb.51:                               ;   in Loop: Header=BB7_50 Depth=6
	v_and_b32_e32 v10, 0xffff, v11
	v_lshl_or_b32 v10, v0, 16, v10
                                        ; implicit-def: $vgpr0
; %bb.52:                               ;   in Loop: Header=BB7_50 Depth=6
	s_andn2_saveexec_b64 s[10:11], s[10:11]
	s_cbranch_execz .LBB7_49
; %bb.53:                               ;   in Loop: Header=BB7_50 Depth=6
	v_and_or_b32 v10, v11, s46, v0
	s_branch .LBB7_49
.LBB7_54:
	s_endpgm
.LBB7_55:
                                        ; implicit-def: $sgpr10_sgpr11
	s_branch .LBB7_2
.LBB7_56:
                                        ; implicit-def: $vgpr4_vgpr5
	s_load_dword s11, s[4:5], 0x3c
	s_branch .LBB7_5
.LBB7_57:
                                        ; implicit-def: $vgpr6_vgpr7
	s_load_dword s40, s[4:5], 0x34
	s_andn2_b64 vcc, exec, s[18:19]
	s_cbranch_vccz .LBB7_9
	s_branch .LBB7_10
	.section	.rodata,"a",@progbits
	.p2align	6, 0x0
	.amdhsa_kernel _ZN2at6native12_GLOBAL__N_130atomicadaptiveaveragegradinputIN3c108BFloat16EEEvPT_PKS5_iiiiiil
		.amdhsa_group_segment_fixed_size 0
		.amdhsa_private_segment_fixed_size 0
		.amdhsa_kernarg_size 304
		.amdhsa_user_sgpr_count 6
		.amdhsa_user_sgpr_private_segment_buffer 1
		.amdhsa_user_sgpr_dispatch_ptr 0
		.amdhsa_user_sgpr_queue_ptr 0
		.amdhsa_user_sgpr_kernarg_segment_ptr 1
		.amdhsa_user_sgpr_dispatch_id 0
		.amdhsa_user_sgpr_flat_scratch_init 0
		.amdhsa_user_sgpr_kernarg_preload_length 0
		.amdhsa_user_sgpr_kernarg_preload_offset 0
		.amdhsa_user_sgpr_private_segment_size 0
		.amdhsa_uses_dynamic_stack 0
		.amdhsa_system_sgpr_private_segment_wavefront_offset 0
		.amdhsa_system_sgpr_workgroup_id_x 1
		.amdhsa_system_sgpr_workgroup_id_y 1
		.amdhsa_system_sgpr_workgroup_id_z 0
		.amdhsa_system_sgpr_workgroup_info 0
		.amdhsa_system_vgpr_workitem_id 1
		.amdhsa_next_free_vgpr 33
		.amdhsa_next_free_sgpr 53
		.amdhsa_accum_offset 36
		.amdhsa_reserve_vcc 1
		.amdhsa_reserve_flat_scratch 0
		.amdhsa_float_round_mode_32 0
		.amdhsa_float_round_mode_16_64 0
		.amdhsa_float_denorm_mode_32 3
		.amdhsa_float_denorm_mode_16_64 3
		.amdhsa_dx10_clamp 1
		.amdhsa_ieee_mode 1
		.amdhsa_fp16_overflow 0
		.amdhsa_tg_split 0
		.amdhsa_exception_fp_ieee_invalid_op 0
		.amdhsa_exception_fp_denorm_src 0
		.amdhsa_exception_fp_ieee_div_zero 0
		.amdhsa_exception_fp_ieee_overflow 0
		.amdhsa_exception_fp_ieee_underflow 0
		.amdhsa_exception_fp_ieee_inexact 0
		.amdhsa_exception_int_div_zero 0
	.end_amdhsa_kernel
	.section	.text._ZN2at6native12_GLOBAL__N_130atomicadaptiveaveragegradinputIN3c108BFloat16EEEvPT_PKS5_iiiiiil,"axG",@progbits,_ZN2at6native12_GLOBAL__N_130atomicadaptiveaveragegradinputIN3c108BFloat16EEEvPT_PKS5_iiiiiil,comdat
.Lfunc_end7:
	.size	_ZN2at6native12_GLOBAL__N_130atomicadaptiveaveragegradinputIN3c108BFloat16EEEvPT_PKS5_iiiiiil, .Lfunc_end7-_ZN2at6native12_GLOBAL__N_130atomicadaptiveaveragegradinputIN3c108BFloat16EEEvPT_PKS5_iiiiiil
                                        ; -- End function
	.section	.AMDGPU.csdata,"",@progbits
; Kernel info:
; codeLenInByte = 7804
; NumSgprs: 57
; NumVgprs: 33
; NumAgprs: 0
; TotalNumVgprs: 33
; ScratchSize: 0
; MemoryBound: 0
; FloatMode: 240
; IeeeMode: 1
; LDSByteSize: 0 bytes/workgroup (compile time only)
; SGPRBlocks: 7
; VGPRBlocks: 4
; NumSGPRsForWavesPerEU: 57
; NumVGPRsForWavesPerEU: 33
; AccumOffset: 36
; Occupancy: 8
; WaveLimiterHint : 0
; COMPUTE_PGM_RSRC2:SCRATCH_EN: 0
; COMPUTE_PGM_RSRC2:USER_SGPR: 6
; COMPUTE_PGM_RSRC2:TRAP_HANDLER: 0
; COMPUTE_PGM_RSRC2:TGID_X_EN: 1
; COMPUTE_PGM_RSRC2:TGID_Y_EN: 1
; COMPUTE_PGM_RSRC2:TGID_Z_EN: 0
; COMPUTE_PGM_RSRC2:TIDIG_COMP_CNT: 1
; COMPUTE_PGM_RSRC3_GFX90A:ACCUM_OFFSET: 8
; COMPUTE_PGM_RSRC3_GFX90A:TG_SPLIT: 0
	.section	.text._ZN2at6native12_GLOBAL__N_124adaptiveaveragegradinputIddEEvPT_PKS3_iiiiiil,"axG",@progbits,_ZN2at6native12_GLOBAL__N_124adaptiveaveragegradinputIddEEvPT_PKS3_iiiiiil,comdat
	.globl	_ZN2at6native12_GLOBAL__N_124adaptiveaveragegradinputIddEEvPT_PKS3_iiiiiil ; -- Begin function _ZN2at6native12_GLOBAL__N_124adaptiveaveragegradinputIddEEvPT_PKS3_iiiiiil
	.p2align	8
	.type	_ZN2at6native12_GLOBAL__N_124adaptiveaveragegradinputIddEEvPT_PKS3_iiiiiil,@function
_ZN2at6native12_GLOBAL__N_124adaptiveaveragegradinputIddEEvPT_PKS3_iiiiiil: ; @_ZN2at6native12_GLOBAL__N_124adaptiveaveragegradinputIddEEvPT_PKS3_iiiiiil
; %bb.0:
	s_load_dwordx8 s[12:19], s[4:5], 0x10
	s_mov_b32 s0, 0
	s_waitcnt lgkmcnt(0)
	s_add_u32 s2, s6, s18
	s_addc_u32 s3, 0, s19
	s_ashr_i32 s11, s12, 31
	s_mov_b32 s10, s12
	s_or_b64 s[8:9], s[2:3], s[10:11]
	s_mov_b32 s1, s9
	s_cmp_lg_u64 s[0:1], 0
	s_cbranch_scc0 .LBB8_85
; %bb.1:
	s_add_u32 s0, s10, s11
	s_mov_b32 s8, s11
	s_mov_b32 s9, s11
	s_addc_u32 s1, s11, s11
	s_xor_b64 s[20:21], s[0:1], s[8:9]
	v_cvt_f32_u32_e32 v1, s20
	v_cvt_f32_u32_e32 v2, s21
	s_sub_u32 s0, 0, s20
	s_subb_u32 s1, 0, s21
	v_madmk_f32 v1, v2, 0x4f800000, v1
	v_rcp_f32_e32 v1, v1
	v_mul_f32_e32 v1, 0x5f7ffffc, v1
	v_mul_f32_e32 v2, 0x2f800000, v1
	v_trunc_f32_e32 v2, v2
	v_madmk_f32 v1, v2, 0xcf800000, v1
	v_cvt_u32_f32_e32 v2, v2
	v_cvt_u32_f32_e32 v1, v1
	v_readfirstlane_b32 s6, v2
	v_readfirstlane_b32 s12, v1
	s_mul_i32 s22, s0, s6
	s_mul_hi_u32 s24, s0, s12
	s_mul_i32 s23, s1, s12
	s_add_i32 s22, s24, s22
	s_add_i32 s22, s22, s23
	s_mul_i32 s25, s0, s12
	s_mul_hi_u32 s23, s12, s22
	s_mul_i32 s24, s12, s22
	s_mul_hi_u32 s12, s12, s25
	s_add_u32 s12, s12, s24
	s_addc_u32 s23, 0, s23
	s_mul_hi_u32 s26, s6, s25
	s_mul_i32 s25, s6, s25
	s_add_u32 s12, s12, s25
	s_mul_hi_u32 s24, s6, s22
	s_addc_u32 s12, s23, s26
	s_addc_u32 s23, s24, 0
	s_mul_i32 s22, s6, s22
	s_add_u32 s12, s12, s22
	s_addc_u32 s22, 0, s23
	v_add_co_u32_e32 v1, vcc, s12, v1
	s_cmp_lg_u64 vcc, 0
	s_addc_u32 s6, s6, s22
	v_readfirstlane_b32 s22, v1
	s_mul_i32 s12, s0, s6
	s_mul_hi_u32 s23, s0, s22
	s_add_i32 s12, s23, s12
	s_mul_i32 s1, s1, s22
	s_add_i32 s12, s12, s1
	s_mul_i32 s0, s0, s22
	s_mul_hi_u32 s23, s6, s0
	s_mul_i32 s24, s6, s0
	s_mul_i32 s26, s22, s12
	s_mul_hi_u32 s0, s22, s0
	s_mul_hi_u32 s25, s22, s12
	s_add_u32 s0, s0, s26
	s_addc_u32 s22, 0, s25
	s_add_u32 s0, s0, s24
	s_mul_hi_u32 s1, s6, s12
	s_addc_u32 s0, s22, s23
	s_addc_u32 s1, s1, 0
	s_mul_i32 s12, s6, s12
	s_add_u32 s0, s0, s12
	s_addc_u32 s1, 0, s1
	v_add_co_u32_e32 v1, vcc, s0, v1
	s_cmp_lg_u64 vcc, 0
	s_addc_u32 s6, s6, s1
	s_ashr_i32 s22, s3, 31
	s_add_u32 s0, s2, s22
	s_mov_b32 s23, s22
	s_addc_u32 s1, s3, s22
	s_xor_b64 s[24:25], s[0:1], s[22:23]
	v_readfirstlane_b32 s12, v1
	s_mul_i32 s1, s24, s6
	s_mul_hi_u32 s26, s24, s12
	s_mul_hi_u32 s0, s24, s6
	s_add_u32 s1, s26, s1
	s_addc_u32 s0, 0, s0
	s_mul_hi_u32 s27, s25, s12
	s_mul_i32 s12, s25, s12
	s_add_u32 s1, s1, s12
	s_mul_hi_u32 s26, s25, s6
	s_addc_u32 s0, s0, s27
	s_addc_u32 s1, s26, 0
	s_mul_i32 s6, s25, s6
	s_add_u32 s6, s0, s6
	s_addc_u32 s12, 0, s1
	s_mul_i32 s0, s20, s12
	s_mul_hi_u32 s1, s20, s6
	s_add_i32 s0, s1, s0
	s_mul_i32 s1, s21, s6
	s_add_i32 s26, s0, s1
	s_mul_i32 s1, s20, s6
	v_mov_b32_e32 v1, s1
	s_sub_i32 s0, s25, s26
	v_sub_co_u32_e32 v1, vcc, s24, v1
	s_cmp_lg_u64 vcc, 0
	s_subb_u32 s24, s0, s21
	v_subrev_co_u32_e64 v2, s[0:1], s20, v1
	s_cmp_lg_u64 s[0:1], 0
	s_subb_u32 s0, s24, 0
	s_cmp_ge_u32 s0, s21
	v_readfirstlane_b32 s24, v2
	s_cselect_b32 s1, -1, 0
	s_cmp_ge_u32 s24, s20
	s_cselect_b32 s24, -1, 0
	s_cmp_eq_u32 s0, s21
	s_cselect_b32 s0, s24, s1
	s_add_u32 s1, s6, 1
	s_addc_u32 s24, s12, 0
	s_add_u32 s27, s6, 2
	s_addc_u32 s28, s12, 0
	s_cmp_lg_u32 s0, 0
	s_cselect_b32 s0, s27, s1
	s_cselect_b32 s1, s28, s24
	s_cmp_lg_u64 vcc, 0
	s_subb_u32 s24, s25, s26
	s_cmp_ge_u32 s24, s21
	v_readfirstlane_b32 s26, v1
	s_cselect_b32 s25, -1, 0
	s_cmp_ge_u32 s26, s20
	s_cselect_b32 s20, -1, 0
	s_cmp_eq_u32 s24, s21
	s_cselect_b32 s20, s20, s25
	s_cmp_lg_u32 s20, 0
	s_cselect_b32 s1, s1, s12
	s_cselect_b32 s0, s0, s6
	s_xor_b64 s[8:9], s[22:23], s[8:9]
	s_xor_b64 s[0:1], s[0:1], s[8:9]
	s_sub_u32 s8, s0, s8
	s_subb_u32 s9, s1, s9
	v_cvt_f32_u32_e32 v1, s10
	s_cbranch_execnz .LBB8_3
.LBB8_2:
	v_rcp_iflag_f32_e32 v2, v1
	s_sub_i32 s0, 0, s10
	s_mov_b32 s9, 0
	v_mul_f32_e32 v2, 0x4f7ffffe, v2
	v_cvt_u32_f32_e32 v2, v2
	v_readfirstlane_b32 s1, v2
	s_mul_i32 s0, s0, s1
	s_mul_hi_u32 s0, s1, s0
	s_add_i32 s1, s1, s0
	s_mul_hi_u32 s0, s2, s1
	s_mul_i32 s6, s0, s10
	s_sub_i32 s6, s2, s6
	s_add_i32 s1, s0, 1
	s_sub_i32 s8, s6, s10
	s_cmp_ge_u32 s6, s10
	s_cselect_b32 s0, s1, s0
	s_cselect_b32 s6, s8, s6
	s_add_i32 s1, s0, 1
	s_cmp_ge_u32 s6, s10
	s_cselect_b32 s8, s1, s0
.LBB8_3:
	s_mul_i32 s0, s8, s11
	s_mul_hi_u32 s1, s8, s10
	s_add_i32 s0, s1, s0
	s_mul_i32 s1, s9, s10
	s_add_i32 s0, s0, s1
	s_mul_i32 s1, s8, s10
	s_sub_u32 s1, s2, s1
	s_subb_u32 s0, s3, s0
	s_ashr_i32 s19, s15, 31
	s_mul_i32 s6, s1, s19
	s_mul_hi_u32 s9, s1, s15
	s_add_i32 s6, s9, s6
	s_mul_i32 s0, s0, s15
	s_add_i32 s23, s6, s0
	s_mul_i32 s22, s1, s15
	s_or_b64 s[0:1], s[22:23], s[10:11]
	s_mov_b32 s0, 0
	s_cmp_lg_u64 s[0:1], 0
	s_mov_b32 s18, s15
	s_cbranch_scc0 .LBB8_86
; %bb.4:
	s_add_u32 s0, s10, s11
	s_mov_b32 s20, s11
	s_mov_b32 s21, s11
	s_addc_u32 s1, s11, s11
	s_xor_b64 s[26:27], s[0:1], s[20:21]
	v_cvt_f32_u32_e32 v2, s26
	v_cvt_f32_u32_e32 v3, s27
	s_sub_u32 s0, 0, s26
	s_subb_u32 s1, 0, s27
	v_madmk_f32 v2, v3, 0x4f800000, v2
	v_rcp_f32_e32 v2, v2
	v_mul_f32_e32 v2, 0x5f7ffffc, v2
	v_mul_f32_e32 v3, 0x2f800000, v2
	v_trunc_f32_e32 v3, v3
	v_madmk_f32 v2, v3, 0xcf800000, v2
	v_cvt_u32_f32_e32 v3, v3
	v_cvt_u32_f32_e32 v2, v2
	v_readfirstlane_b32 s6, v3
	v_readfirstlane_b32 s9, v2
	s_mul_i32 s12, s0, s6
	s_mul_hi_u32 s29, s0, s9
	s_mul_i32 s28, s1, s9
	s_add_i32 s12, s29, s12
	s_add_i32 s12, s12, s28
	s_mul_i32 s30, s0, s9
	s_mul_hi_u32 s28, s9, s12
	s_mul_i32 s29, s9, s12
	s_mul_hi_u32 s9, s9, s30
	s_add_u32 s9, s9, s29
	s_addc_u32 s28, 0, s28
	s_mul_hi_u32 s31, s6, s30
	s_mul_i32 s30, s6, s30
	s_add_u32 s9, s9, s30
	s_mul_hi_u32 s29, s6, s12
	s_addc_u32 s9, s28, s31
	s_addc_u32 s28, s29, 0
	s_mul_i32 s12, s6, s12
	s_add_u32 s9, s9, s12
	s_addc_u32 s12, 0, s28
	v_add_co_u32_e32 v2, vcc, s9, v2
	s_cmp_lg_u64 vcc, 0
	s_addc_u32 s6, s6, s12
	v_readfirstlane_b32 s12, v2
	s_mul_i32 s9, s0, s6
	s_mul_hi_u32 s28, s0, s12
	s_add_i32 s9, s28, s9
	s_mul_i32 s1, s1, s12
	s_add_i32 s9, s9, s1
	s_mul_i32 s0, s0, s12
	s_mul_hi_u32 s28, s6, s0
	s_mul_i32 s29, s6, s0
	s_mul_i32 s31, s12, s9
	s_mul_hi_u32 s0, s12, s0
	s_mul_hi_u32 s30, s12, s9
	s_add_u32 s0, s0, s31
	s_addc_u32 s12, 0, s30
	s_add_u32 s0, s0, s29
	s_mul_hi_u32 s1, s6, s9
	s_addc_u32 s0, s12, s28
	s_addc_u32 s1, s1, 0
	s_mul_i32 s9, s6, s9
	s_add_u32 s0, s0, s9
	s_addc_u32 s1, 0, s1
	v_add_co_u32_e32 v2, vcc, s0, v2
	s_cmp_lg_u64 vcc, 0
	s_addc_u32 s6, s6, s1
	s_ashr_i32 s28, s23, 31
	s_add_u32 s0, s22, s28
	s_mov_b32 s29, s28
	s_addc_u32 s1, s23, s28
	s_xor_b64 s[30:31], s[0:1], s[28:29]
	v_readfirstlane_b32 s9, v2
	s_mul_i32 s1, s30, s6
	s_mul_hi_u32 s12, s30, s9
	s_mul_hi_u32 s0, s30, s6
	s_add_u32 s1, s12, s1
	s_addc_u32 s0, 0, s0
	s_mul_hi_u32 s33, s31, s9
	s_mul_i32 s9, s31, s9
	s_add_u32 s1, s1, s9
	s_mul_hi_u32 s12, s31, s6
	s_addc_u32 s0, s0, s33
	s_addc_u32 s1, s12, 0
	s_mul_i32 s6, s31, s6
	s_add_u32 s6, s0, s6
	s_addc_u32 s9, 0, s1
	s_mul_i32 s0, s26, s9
	s_mul_hi_u32 s1, s26, s6
	s_add_i32 s0, s1, s0
	s_mul_i32 s1, s27, s6
	s_add_i32 s12, s0, s1
	s_mul_i32 s1, s26, s6
	v_mov_b32_e32 v2, s1
	s_sub_i32 s0, s31, s12
	v_sub_co_u32_e32 v2, vcc, s30, v2
	s_cmp_lg_u64 vcc, 0
	s_subb_u32 s30, s0, s27
	v_subrev_co_u32_e64 v3, s[0:1], s26, v2
	s_cmp_lg_u64 s[0:1], 0
	s_subb_u32 s0, s30, 0
	s_cmp_ge_u32 s0, s27
	v_readfirstlane_b32 s30, v3
	s_cselect_b32 s1, -1, 0
	s_cmp_ge_u32 s30, s26
	s_cselect_b32 s30, -1, 0
	s_cmp_eq_u32 s0, s27
	s_cselect_b32 s0, s30, s1
	s_add_u32 s1, s6, 1
	s_addc_u32 s30, s9, 0
	s_add_u32 s33, s6, 2
	s_addc_u32 s34, s9, 0
	s_cmp_lg_u32 s0, 0
	s_cselect_b32 s0, s33, s1
	s_cselect_b32 s1, s34, s30
	s_cmp_lg_u64 vcc, 0
	s_subb_u32 s12, s31, s12
	s_cmp_ge_u32 s12, s27
	v_readfirstlane_b32 s31, v2
	s_cselect_b32 s30, -1, 0
	s_cmp_ge_u32 s31, s26
	s_cselect_b32 s26, -1, 0
	s_cmp_eq_u32 s12, s27
	s_cselect_b32 s12, s26, s30
	s_cmp_lg_u32 s12, 0
	s_cselect_b32 s1, s1, s9
	s_cselect_b32 s0, s0, s6
	s_xor_b64 s[20:21], s[28:29], s[20:21]
	s_xor_b64 s[0:1], s[0:1], s[20:21]
	s_sub_u32 s20, s0, s20
	s_cbranch_execnz .LBB8_6
.LBB8_5:
	v_rcp_iflag_f32_e32 v2, v1
	s_sub_i32 s0, 0, s10
	v_mul_f32_e32 v2, 0x4f7ffffe, v2
	v_cvt_u32_f32_e32 v2, v2
	v_readfirstlane_b32 s1, v2
	s_mul_i32 s0, s0, s1
	s_mul_hi_u32 s0, s1, s0
	s_add_i32 s1, s1, s0
	s_mul_hi_u32 s0, s22, s1
	s_mul_i32 s6, s0, s10
	s_sub_i32 s6, s22, s6
	s_add_i32 s1, s0, 1
	s_sub_i32 s9, s6, s10
	s_cmp_ge_u32 s6, s10
	s_cselect_b32 s0, s1, s0
	s_cselect_b32 s6, s9, s6
	s_add_i32 s1, s0, 1
	s_cmp_ge_u32 s6, s10
	s_cselect_b32 s20, s1, s0
.LBB8_6:
	s_add_u32 s0, s22, s18
	s_addc_u32 s1, s23, s19
	s_add_u32 s22, s0, -1
	s_addc_u32 s23, s1, -1
	s_or_b64 s[0:1], s[22:23], s[10:11]
	s_mov_b32 s0, 0
	s_cmp_lg_u64 s[0:1], 0
	s_mov_b64 s[24:25], -1
	s_cbranch_scc0 .LBB8_87
; %bb.7:
	s_add_u32 s0, s10, s11
	s_mov_b32 s26, s11
	s_mov_b32 s27, s11
	s_addc_u32 s1, s11, s11
	s_xor_b64 s[28:29], s[0:1], s[26:27]
	v_cvt_f32_u32_e32 v2, s28
	v_cvt_f32_u32_e32 v3, s29
	s_sub_u32 s0, 0, s28
	s_subb_u32 s1, 0, s29
	v_madmk_f32 v2, v3, 0x4f800000, v2
	v_rcp_f32_e32 v2, v2
	v_mul_f32_e32 v2, 0x5f7ffffc, v2
	v_mul_f32_e32 v3, 0x2f800000, v2
	v_trunc_f32_e32 v3, v3
	v_madmk_f32 v2, v3, 0xcf800000, v2
	v_cvt_u32_f32_e32 v3, v3
	v_cvt_u32_f32_e32 v2, v2
	v_readfirstlane_b32 s6, v3
	v_readfirstlane_b32 s9, v2
	s_mul_i32 s12, s0, s6
	s_mul_hi_u32 s30, s0, s9
	s_mul_i32 s21, s1, s9
	s_add_i32 s12, s30, s12
	s_add_i32 s12, s12, s21
	s_mul_i32 s31, s0, s9
	s_mul_hi_u32 s21, s9, s12
	s_mul_i32 s30, s9, s12
	s_mul_hi_u32 s9, s9, s31
	s_add_u32 s9, s9, s30
	s_addc_u32 s21, 0, s21
	s_mul_hi_u32 s33, s6, s31
	s_mul_i32 s31, s6, s31
	s_add_u32 s9, s9, s31
	s_mul_hi_u32 s30, s6, s12
	s_addc_u32 s9, s21, s33
	s_addc_u32 s21, s30, 0
	s_mul_i32 s12, s6, s12
	s_add_u32 s9, s9, s12
	s_addc_u32 s12, 0, s21
	v_add_co_u32_e32 v2, vcc, s9, v2
	s_cmp_lg_u64 vcc, 0
	s_addc_u32 s6, s6, s12
	v_readfirstlane_b32 s12, v2
	s_mul_i32 s9, s0, s6
	s_mul_hi_u32 s21, s0, s12
	s_add_i32 s9, s21, s9
	s_mul_i32 s1, s1, s12
	s_add_i32 s9, s9, s1
	s_mul_i32 s0, s0, s12
	s_mul_hi_u32 s21, s6, s0
	s_mul_i32 s30, s6, s0
	s_mul_i32 s33, s12, s9
	s_mul_hi_u32 s0, s12, s0
	s_mul_hi_u32 s31, s12, s9
	s_add_u32 s0, s0, s33
	s_addc_u32 s12, 0, s31
	s_add_u32 s0, s0, s30
	s_mul_hi_u32 s1, s6, s9
	s_addc_u32 s0, s12, s21
	s_addc_u32 s1, s1, 0
	s_mul_i32 s9, s6, s9
	s_add_u32 s0, s0, s9
	s_addc_u32 s1, 0, s1
	v_add_co_u32_e32 v2, vcc, s0, v2
	s_cmp_lg_u64 vcc, 0
	s_addc_u32 s6, s6, s1
	s_ashr_i32 s30, s23, 31
	s_add_u32 s0, s22, s30
	s_mov_b32 s31, s30
	s_addc_u32 s1, s23, s30
	s_xor_b64 s[34:35], s[0:1], s[30:31]
	v_readfirstlane_b32 s9, v2
	s_mul_i32 s1, s34, s6
	s_mul_hi_u32 s12, s34, s9
	s_mul_hi_u32 s0, s34, s6
	s_add_u32 s1, s12, s1
	s_addc_u32 s0, 0, s0
	s_mul_hi_u32 s21, s35, s9
	s_mul_i32 s9, s35, s9
	s_add_u32 s1, s1, s9
	s_mul_hi_u32 s12, s35, s6
	s_addc_u32 s0, s0, s21
	s_addc_u32 s1, s12, 0
	s_mul_i32 s6, s35, s6
	s_add_u32 s6, s0, s6
	s_addc_u32 s0, 0, s1
	s_mul_i32 s0, s28, s0
	s_mul_hi_u32 s1, s28, s6
	s_add_i32 s0, s1, s0
	s_mul_i32 s1, s29, s6
	s_add_i32 s9, s0, s1
	s_mul_i32 s1, s28, s6
	v_mov_b32_e32 v2, s1
	s_sub_i32 s0, s35, s9
	v_sub_co_u32_e32 v2, vcc, s34, v2
	s_cmp_lg_u64 vcc, 0
	s_subb_u32 s12, s0, s29
	v_subrev_co_u32_e64 v3, s[0:1], s28, v2
	s_cmp_lg_u64 s[0:1], 0
	s_subb_u32 s12, s12, 0
	s_cmp_ge_u32 s12, s29
	s_cselect_b32 s21, -1, 0
	v_cmp_le_u32_e64 s[0:1], s28, v3
	s_cmp_eq_u32 s12, s29
	v_cndmask_b32_e64 v3, 0, -1, s[0:1]
	v_mov_b32_e32 v4, s21
	s_cselect_b64 s[0:1], -1, 0
	v_cndmask_b32_e64 v3, v4, v3, s[0:1]
	s_add_u32 s0, s6, 1
	s_add_u32 s1, s6, 2
	v_mov_b32_e32 v4, s0
	v_mov_b32_e32 v5, s1
	v_cmp_ne_u32_e64 s[0:1], 0, v3
	s_cmp_lg_u64 vcc, 0
	v_cndmask_b32_e64 v3, v4, v5, s[0:1]
	s_subb_u32 s0, s35, s9
	s_cmp_ge_u32 s0, s29
	s_cselect_b32 s1, -1, 0
	v_cmp_le_u32_e32 vcc, s28, v2
	s_cmp_eq_u32 s0, s29
	v_cndmask_b32_e64 v2, 0, -1, vcc
	v_mov_b32_e32 v4, s1
	s_cselect_b64 vcc, -1, 0
	v_cndmask_b32_e32 v2, v4, v2, vcc
	v_mov_b32_e32 v4, s6
	v_cmp_ne_u32_e32 vcc, 0, v2
	v_cndmask_b32_e32 v2, v4, v3, vcc
	s_xor_b64 s[0:1], s[30:31], s[26:27]
	v_xor_b32_e32 v2, s0, v2
	v_subrev_co_u32_e32 v4, vcc, s0, v2
	s_load_dword s0, s[4:5], 0x3c
	s_cbranch_execnz .LBB8_9
.LBB8_8:
	v_rcp_iflag_f32_e32 v1, v1
	s_sub_i32 s1, 0, s10
	v_mul_f32_e32 v1, 0x4f7ffffe, v1
	v_cvt_u32_f32_e32 v1, v1
	v_mul_lo_u32 v2, s1, v1
	v_mul_hi_u32 v2, v1, v2
	v_add_u32_e32 v1, v1, v2
	v_mul_hi_u32 v1, s22, v1
	v_mul_lo_u32 v3, v1, s10
	v_sub_u32_e32 v3, s22, v3
	v_add_u32_e32 v2, 1, v1
	v_subrev_u32_e32 v4, s10, v3
	v_cmp_le_u32_e32 vcc, s10, v3
	v_cndmask_b32_e32 v3, v3, v4, vcc
	v_cndmask_b32_e32 v1, v1, v2, vcc
	v_add_u32_e32 v2, 1, v1
	v_cmp_le_u32_e32 vcc, s10, v3
	v_cndmask_b32_e32 v4, v1, v2, vcc
.LBB8_9:
	s_waitcnt lgkmcnt(0)
	s_lshr_b32 s1, s0, 16
	s_mul_i32 s7, s7, s1
	v_bfe_u32 v1, v0, 10, 10
	v_add_u32_e32 v2, s7, v1
	v_cmp_gt_i32_e32 vcc, s13, v2
	s_and_saveexec_b64 s[6:7], vcc
	s_cbranch_execz .LBB8_84
; %bb.10:
	s_load_dword s6, s[4:5], 0x34
	s_load_dwordx4 s[24:27], s[4:5], 0x0
	s_mul_i32 s5, s14, s13
	s_mul_hi_i32 s4, s14, s13
	s_mul_i32 s3, s5, s3
	s_mul_hi_u32 s7, s5, s2
	s_add_i32 s3, s7, s3
	s_mul_i32 s4, s4, s2
	s_add_i32 s3, s3, s4
	s_mul_i32 s2, s5, s2
	s_ashr_i32 s12, s13, 31
	s_ashr_i32 s33, s14, 31
	s_lshl_b64 s[2:3], s[2:3], 3
	s_waitcnt lgkmcnt(0)
	s_add_u32 s55, s24, s2
	s_mul_i32 s2, s8, s15
	s_addc_u32 s56, s25, s3
	s_add_i32 s2, s2, s20
	s_mul_i32 s4, s17, s16
	s_mul_i32 s2, s4, s2
	s_ashr_i32 s3, s2, 31
	s_lshl_b64 s[2:3], s[2:3], 3
	s_add_u32 s22, s26, s2
	s_addc_u32 s23, s27, s3
	s_ashr_i32 s62, s13, 31
	s_add_i32 s2, s13, s62
	s_xor_b32 s63, s2, s62
	v_and_b32_e32 v41, 0x3ff, v0
	v_cvt_f32_u32_e32 v0, s63
	s_mov_b32 s21, s13
	v_cvt_f32_u32_e32 v3, s21
	s_ashr_i32 s5, s4, 31
	v_rcp_iflag_f32_e32 v1, v0
	s_lshl_b64 s[24:25], s[4:5], 3
	v_rcp_iflag_f32_e32 v3, v3
	s_sub_i32 s4, 0, s63
	v_mul_f32_e32 v1, 0x4f7ffffe, v1
	v_cvt_u32_f32_e32 v1, v1
	v_mul_f32_e32 v3, 0x4f7ffffe, v3
	v_cvt_u32_f32_e32 v3, v3
	v_add_u32_e32 v40, 1, v4
	v_mul_lo_u32 v4, s4, v1
	v_mul_hi_u32 v4, v1, v4
	s_sub_i32 s4, 0, s13
	v_add_u32_e32 v42, v1, v4
	v_mul_lo_u32 v1, s4, v3
	v_mul_hi_u32 v1, v3, v1
	s_mov_b32 s54, s14
	s_mul_i32 s15, s6, s1
	s_and_b32 s57, s0, 0xffff
	s_ashr_i32 s58, s16, 31
	s_mov_b32 s59, s16
	v_cmp_gt_i32_e64 s[0:1], s14, v41
	s_ashr_i32 s60, s17, 31
	s_mov_b32 s61, s17
	v_cmp_lt_i32_e64 s[2:3], s20, v40
	s_mov_b64 s[26:27], 0
	v_mov_b32_e32 v0, 0
	s_mov_b32 s28, 0
	v_add_u32_e32 v43, v3, v1
	s_branch .LBB8_12
.LBB8_11:                               ;   in Loop: Header=BB8_12 Depth=1
	s_or_b64 exec, exec, s[30:31]
	v_add_u32_e32 v2, s15, v2
	v_cmp_le_i32_e32 vcc, s13, v2
	s_or_b64 s[26:27], vcc, s[26:27]
	s_andn2_b64 exec, exec, s[26:27]
	s_cbranch_execz .LBB8_84
.LBB8_12:                               ; =>This Loop Header: Depth=1
                                        ;     Child Loop BB8_27 Depth 2
                                        ;       Child Loop BB8_42 Depth 3
                                        ;         Child Loop BB8_54 Depth 4
                                        ;           Child Loop BB8_69 Depth 5
	v_ashrrev_i32_e32 v3, 31, v2
	v_or_b32_e32 v1, s12, v3
	v_cmp_ne_u64_e32 vcc, 0, v[0:1]
                                        ; implicit-def: $vgpr6_vgpr7
	s_and_saveexec_b64 s[4:5], vcc
	s_xor_b64 s[4:5], exec, s[4:5]
	s_cbranch_execz .LBB8_14
; %bb.13:                               ;   in Loop: Header=BB8_12 Depth=1
	v_ashrrev_i32_e32 v1, 31, v2
	v_add_u32_e32 v4, v2, v1
	v_xor_b32_e32 v4, v4, v1
	v_mul_hi_u32 v5, v4, v42
	v_mul_lo_u32 v6, v5, s63
	v_sub_u32_e32 v4, v4, v6
	v_subrev_u32_e32 v6, s63, v4
	v_cmp_le_u32_e32 vcc, s63, v4
	v_cndmask_b32_e32 v4, v4, v6, vcc
	v_add_u32_e32 v6, 1, v5
	v_cndmask_b32_e32 v5, v5, v6, vcc
	v_add_u32_e32 v6, 1, v5
	v_cmp_le_u32_e32 vcc, s63, v4
	v_cndmask_b32_e32 v4, v5, v6, vcc
	v_xor_b32_e32 v1, s62, v1
	v_xor_b32_e32 v4, v4, v1
	v_sub_u32_e32 v6, v4, v1
	v_ashrrev_i32_e32 v7, 31, v6
.LBB8_14:                               ;   in Loop: Header=BB8_12 Depth=1
	s_andn2_saveexec_b64 s[4:5], s[4:5]
	s_cbranch_execz .LBB8_16
; %bb.15:                               ;   in Loop: Header=BB8_12 Depth=1
	v_mul_hi_u32 v1, v2, v43
	v_mul_lo_u32 v4, v1, s21
	v_sub_u32_e32 v4, v2, v4
	v_subrev_u32_e32 v5, s21, v4
	v_cmp_le_u32_e32 vcc, s21, v4
	v_cndmask_b32_e32 v4, v4, v5, vcc
	v_add_u32_e32 v5, 1, v1
	v_cndmask_b32_e32 v1, v1, v5, vcc
	v_add_u32_e32 v5, 1, v1
	v_cmp_le_u32_e32 vcc, s21, v4
	v_cndmask_b32_e32 v6, v1, v5, vcc
	v_mov_b32_e32 v7, v0
.LBB8_16:                               ;   in Loop: Header=BB8_12 Depth=1
	s_or_b64 exec, exec, s[4:5]
	v_mul_lo_u32 v1, v7, s21
	v_mul_lo_u32 v7, v6, s12
	v_mad_u64_u32 v[4:5], s[4:5], v6, s21, 0
	v_add3_u32 v1, v5, v7, v1
	v_sub_co_u32_e32 v4, vcc, v2, v4
	v_subb_co_u32_e32 v1, vcc, v3, v1, vcc
	v_mul_lo_u32 v1, v1, s59
	v_mul_lo_u32 v7, v4, s58
	v_mad_u64_u32 v[4:5], s[4:5], v4, s59, 0
	v_add3_u32 v5, v5, v7, v1
	v_or_b32_e32 v1, s12, v5
	v_cmp_ne_u64_e32 vcc, 0, v[0:1]
                                        ; implicit-def: $vgpr8_vgpr9
	s_and_saveexec_b64 s[4:5], vcc
	s_xor_b64 s[6:7], exec, s[4:5]
	s_cbranch_execz .LBB8_18
; %bb.17:                               ;   in Loop: Header=BB8_12 Depth=1
	s_add_u32 s4, s21, s12
	s_mov_b32 s8, s12
	s_mov_b32 s9, s12
	s_addc_u32 s5, s12, s12
	s_xor_b64 s[30:31], s[4:5], s[8:9]
	v_cvt_f32_u32_e32 v1, s30
	v_cvt_f32_u32_e32 v7, s31
	s_sub_u32 s4, 0, s30
	s_subb_u32 s5, 0, s31
	v_mac_f32_e32 v1, 0x4f800000, v7
	v_rcp_f32_e32 v1, v1
	v_mul_f32_e32 v1, 0x5f7ffffc, v1
	v_mul_f32_e32 v7, 0x2f800000, v1
	v_trunc_f32_e32 v7, v7
	v_mac_f32_e32 v1, 0xcf800000, v7
	v_cvt_u32_f32_e32 v7, v7
	v_cvt_u32_f32_e32 v1, v1
	v_mul_lo_u32 v8, s4, v7
	v_mul_hi_u32 v10, s4, v1
	v_mul_lo_u32 v9, s5, v1
	v_add_u32_e32 v8, v10, v8
	v_mul_lo_u32 v11, s4, v1
	v_add_u32_e32 v8, v8, v9
	v_mul_lo_u32 v10, v1, v8
	v_mul_hi_u32 v12, v1, v11
	v_mul_hi_u32 v9, v1, v8
	v_add_co_u32_e32 v10, vcc, v12, v10
	v_addc_co_u32_e32 v9, vcc, 0, v9, vcc
	v_mul_hi_u32 v13, v7, v11
	v_mul_lo_u32 v11, v7, v11
	v_add_co_u32_e32 v10, vcc, v10, v11
	v_mul_hi_u32 v12, v7, v8
	v_addc_co_u32_e32 v9, vcc, v9, v13, vcc
	v_addc_co_u32_e32 v10, vcc, 0, v12, vcc
	v_mul_lo_u32 v8, v7, v8
	v_add_co_u32_e32 v8, vcc, v9, v8
	v_addc_co_u32_e32 v9, vcc, 0, v10, vcc
	v_add_co_u32_e32 v1, vcc, v1, v8
	v_addc_co_u32_e32 v7, vcc, v7, v9, vcc
	v_mul_lo_u32 v8, s4, v7
	v_mul_hi_u32 v9, s4, v1
	v_add_u32_e32 v8, v9, v8
	v_mul_lo_u32 v9, s5, v1
	v_add_u32_e32 v8, v8, v9
	v_mul_lo_u32 v10, s4, v1
	v_mul_hi_u32 v11, v7, v10
	v_mul_lo_u32 v12, v7, v10
	v_mul_lo_u32 v14, v1, v8
	v_mul_hi_u32 v10, v1, v10
	v_mul_hi_u32 v13, v1, v8
	v_add_co_u32_e32 v10, vcc, v10, v14
	v_addc_co_u32_e32 v13, vcc, 0, v13, vcc
	v_add_co_u32_e32 v10, vcc, v10, v12
	v_mul_hi_u32 v9, v7, v8
	v_addc_co_u32_e32 v10, vcc, v13, v11, vcc
	v_addc_co_u32_e32 v9, vcc, 0, v9, vcc
	v_mul_lo_u32 v8, v7, v8
	v_add_co_u32_e32 v8, vcc, v10, v8
	v_addc_co_u32_e32 v9, vcc, 0, v9, vcc
	v_add_co_u32_e32 v1, vcc, v1, v8
	v_addc_co_u32_e32 v7, vcc, v7, v9, vcc
	v_ashrrev_i32_e32 v10, 31, v5
	v_add_co_u32_e32 v4, vcc, v4, v10
	v_addc_co_u32_e32 v5, vcc, v5, v10, vcc
	v_xor_b32_e32 v12, v4, v10
	v_xor_b32_e32 v11, v5, v10
	v_mad_u64_u32 v[4:5], s[4:5], v12, v7, 0
	v_mul_hi_u32 v8, v12, v1
	v_add_co_u32_e32 v13, vcc, v8, v4
	v_addc_co_u32_e32 v14, vcc, 0, v5, vcc
	v_mad_u64_u32 v[8:9], s[4:5], v11, v1, 0
	v_add_co_u32_e32 v1, vcc, v13, v8
	v_mad_u64_u32 v[4:5], s[4:5], v11, v7, 0
	v_addc_co_u32_e32 v1, vcc, v14, v9, vcc
	v_addc_co_u32_e32 v5, vcc, 0, v5, vcc
	v_add_co_u32_e32 v1, vcc, v1, v4
	v_addc_co_u32_e32 v4, vcc, 0, v5, vcc
	v_mul_lo_u32 v7, s31, v1
	v_mul_lo_u32 v8, s30, v4
	v_mad_u64_u32 v[4:5], s[4:5], s30, v1, 0
	v_add3_u32 v5, v5, v8, v7
	v_sub_u32_e32 v7, v11, v5
	v_mov_b32_e32 v8, s31
	v_sub_co_u32_e32 v4, vcc, v12, v4
	v_subb_co_u32_e64 v7, s[4:5], v7, v8, vcc
	v_subrev_co_u32_e64 v8, s[4:5], s30, v4
	v_subbrev_co_u32_e64 v7, s[4:5], 0, v7, s[4:5]
	v_cmp_le_u32_e64 s[4:5], s31, v7
	v_subb_co_u32_e32 v5, vcc, v11, v5, vcc
	v_cndmask_b32_e64 v9, 0, -1, s[4:5]
	v_cmp_le_u32_e64 s[4:5], s30, v8
	v_cmp_le_u32_e32 vcc, s31, v5
	v_cndmask_b32_e64 v8, 0, -1, s[4:5]
	v_cmp_eq_u32_e64 s[4:5], s31, v7
	v_cndmask_b32_e64 v11, 0, -1, vcc
	v_cmp_le_u32_e32 vcc, s30, v4
	v_cndmask_b32_e64 v7, v9, v8, s[4:5]
	v_cndmask_b32_e64 v4, 0, -1, vcc
	v_cmp_eq_u32_e32 vcc, s31, v5
	v_add_co_u32_e64 v8, s[4:5], 2, v1
	v_add_co_u32_e64 v9, s[4:5], 1, v1
	v_cndmask_b32_e32 v4, v11, v4, vcc
	v_cmp_ne_u32_e32 vcc, 0, v7
	v_cndmask_b32_e32 v5, v9, v8, vcc
	v_cmp_ne_u32_e32 vcc, 0, v4
	v_cndmask_b32_e32 v1, v1, v5, vcc
	v_xor_b32_e32 v4, s8, v10
	v_xor_b32_e32 v1, v1, v4
	v_sub_co_u32_e32 v8, vcc, v1, v4
                                        ; implicit-def: $vgpr4_vgpr5
.LBB8_18:                               ;   in Loop: Header=BB8_12 Depth=1
	s_andn2_saveexec_b64 s[4:5], s[6:7]
; %bb.19:                               ;   in Loop: Header=BB8_12 Depth=1
	v_mul_hi_u32 v1, v4, v43
	v_mul_lo_u32 v5, v1, s21
	v_sub_u32_e32 v4, v4, v5
	v_subrev_u32_e32 v5, s21, v4
	v_cmp_le_u32_e32 vcc, s21, v4
	v_cndmask_b32_e32 v4, v4, v5, vcc
	v_add_u32_e32 v5, 1, v1
	v_cndmask_b32_e32 v1, v1, v5, vcc
	v_add_u32_e32 v5, 1, v1
	v_cmp_le_u32_e32 vcc, s21, v4
	v_cndmask_b32_e32 v8, v1, v5, vcc
; %bb.20:                               ;   in Loop: Header=BB8_12 Depth=1
	s_or_b64 exec, exec, s[4:5]
	v_add_co_u32_e32 v1, vcc, 1, v2
	v_addc_co_u32_e32 v3, vcc, 0, v3, vcc
	v_mul_lo_u32 v7, v1, s58
	v_mul_lo_u32 v3, v3, s59
	v_mad_u64_u32 v[4:5], s[4:5], v1, s59, -1
	v_add3_u32 v5, v3, v5, v7
	v_or_b32_e32 v1, s12, v5
	v_cmp_ne_u64_e32 vcc, 0, v[0:1]
                                        ; implicit-def: $vgpr10_vgpr11
	s_and_saveexec_b64 s[4:5], vcc
	s_xor_b64 s[6:7], exec, s[4:5]
	s_cbranch_execnz .LBB8_23
; %bb.21:                               ;   in Loop: Header=BB8_12 Depth=1
	s_andn2_saveexec_b64 s[4:5], s[6:7]
	s_cbranch_execnz .LBB8_24
.LBB8_22:                               ;   in Loop: Header=BB8_12 Depth=1
	s_or_b64 exec, exec, s[4:5]
	s_and_saveexec_b64 s[30:31], s[0:1]
	s_cbranch_execz .LBB8_11
	s_branch .LBB8_25
.LBB8_23:                               ;   in Loop: Header=BB8_12 Depth=1
	s_add_u32 s4, s21, s12
	s_mov_b32 s8, s12
	s_mov_b32 s9, s12
	s_addc_u32 s5, s12, s12
	s_xor_b64 s[30:31], s[4:5], s[8:9]
	v_cvt_f32_u32_e32 v1, s30
	v_cvt_f32_u32_e32 v3, s31
	s_sub_u32 s4, 0, s30
	s_subb_u32 s5, 0, s31
	v_mac_f32_e32 v1, 0x4f800000, v3
	v_rcp_f32_e32 v1, v1
	v_mul_f32_e32 v1, 0x5f7ffffc, v1
	v_mul_f32_e32 v3, 0x2f800000, v1
	v_trunc_f32_e32 v3, v3
	v_mac_f32_e32 v1, 0xcf800000, v3
	v_cvt_u32_f32_e32 v3, v3
	v_cvt_u32_f32_e32 v1, v1
	v_mul_lo_u32 v7, s4, v3
	v_mul_hi_u32 v10, s4, v1
	v_mul_lo_u32 v9, s5, v1
	v_add_u32_e32 v7, v10, v7
	v_mul_lo_u32 v11, s4, v1
	v_add_u32_e32 v7, v7, v9
	v_mul_lo_u32 v10, v1, v7
	v_mul_hi_u32 v12, v1, v11
	v_mul_hi_u32 v9, v1, v7
	v_add_co_u32_e32 v10, vcc, v12, v10
	v_addc_co_u32_e32 v9, vcc, 0, v9, vcc
	v_mul_hi_u32 v13, v3, v11
	v_mul_lo_u32 v11, v3, v11
	v_add_co_u32_e32 v10, vcc, v10, v11
	v_mul_hi_u32 v12, v3, v7
	v_addc_co_u32_e32 v9, vcc, v9, v13, vcc
	v_addc_co_u32_e32 v10, vcc, 0, v12, vcc
	v_mul_lo_u32 v7, v3, v7
	v_add_co_u32_e32 v7, vcc, v9, v7
	v_addc_co_u32_e32 v9, vcc, 0, v10, vcc
	v_add_co_u32_e32 v1, vcc, v1, v7
	v_addc_co_u32_e32 v3, vcc, v3, v9, vcc
	v_mul_lo_u32 v7, s4, v3
	v_mul_hi_u32 v9, s4, v1
	v_add_u32_e32 v7, v9, v7
	v_mul_lo_u32 v9, s5, v1
	v_add_u32_e32 v7, v7, v9
	v_mul_lo_u32 v10, s4, v1
	v_mul_hi_u32 v11, v3, v10
	v_mul_lo_u32 v12, v3, v10
	v_mul_lo_u32 v14, v1, v7
	v_mul_hi_u32 v10, v1, v10
	v_mul_hi_u32 v13, v1, v7
	v_add_co_u32_e32 v10, vcc, v10, v14
	v_addc_co_u32_e32 v13, vcc, 0, v13, vcc
	v_add_co_u32_e32 v10, vcc, v10, v12
	v_mul_hi_u32 v9, v3, v7
	v_addc_co_u32_e32 v10, vcc, v13, v11, vcc
	v_addc_co_u32_e32 v9, vcc, 0, v9, vcc
	v_mul_lo_u32 v7, v3, v7
	v_add_co_u32_e32 v7, vcc, v10, v7
	v_addc_co_u32_e32 v9, vcc, 0, v9, vcc
	v_add_co_u32_e32 v1, vcc, v1, v7
	v_addc_co_u32_e32 v3, vcc, v3, v9, vcc
	v_ashrrev_i32_e32 v7, 31, v5
	v_add_co_u32_e32 v4, vcc, v4, v7
	v_addc_co_u32_e32 v5, vcc, v5, v7, vcc
	v_xor_b32_e32 v12, v4, v7
	v_xor_b32_e32 v9, v5, v7
	v_mad_u64_u32 v[4:5], s[4:5], v12, v3, 0
	v_mul_hi_u32 v10, v12, v1
	v_add_co_u32_e32 v13, vcc, v10, v4
	v_addc_co_u32_e32 v14, vcc, 0, v5, vcc
	v_mad_u64_u32 v[10:11], s[4:5], v9, v1, 0
	v_add_co_u32_e32 v1, vcc, v13, v10
	v_mad_u64_u32 v[4:5], s[4:5], v9, v3, 0
	v_addc_co_u32_e32 v1, vcc, v14, v11, vcc
	v_addc_co_u32_e32 v3, vcc, 0, v5, vcc
	v_add_co_u32_e32 v1, vcc, v1, v4
	v_addc_co_u32_e32 v3, vcc, 0, v3, vcc
	v_mul_lo_u32 v10, s31, v1
	v_mul_lo_u32 v3, s30, v3
	v_mad_u64_u32 v[4:5], s[4:5], s30, v1, 0
	v_add3_u32 v3, v5, v3, v10
	v_sub_u32_e32 v5, v9, v3
	v_mov_b32_e32 v10, s31
	v_sub_co_u32_e32 v4, vcc, v12, v4
	v_subb_co_u32_e64 v5, s[4:5], v5, v10, vcc
	v_subrev_co_u32_e64 v10, s[4:5], s30, v4
	v_subbrev_co_u32_e64 v5, s[4:5], 0, v5, s[4:5]
	v_cmp_le_u32_e64 s[4:5], s31, v5
	v_subb_co_u32_e32 v3, vcc, v9, v3, vcc
	v_cndmask_b32_e64 v11, 0, -1, s[4:5]
	v_cmp_le_u32_e64 s[4:5], s30, v10
	v_cmp_le_u32_e32 vcc, s31, v3
	v_cndmask_b32_e64 v10, 0, -1, s[4:5]
	v_cmp_eq_u32_e64 s[4:5], s31, v5
	v_cndmask_b32_e64 v9, 0, -1, vcc
	v_cmp_le_u32_e32 vcc, s30, v4
	v_cndmask_b32_e64 v5, v11, v10, s[4:5]
	v_cndmask_b32_e64 v4, 0, -1, vcc
	v_cmp_eq_u32_e32 vcc, s31, v3
	v_add_co_u32_e64 v10, s[4:5], 2, v1
	v_add_co_u32_e64 v11, s[4:5], 1, v1
	v_cndmask_b32_e32 v3, v9, v4, vcc
	v_cmp_ne_u32_e32 vcc, 0, v5
	v_cndmask_b32_e32 v4, v11, v10, vcc
	v_cmp_ne_u32_e32 vcc, 0, v3
	v_cndmask_b32_e32 v1, v1, v4, vcc
	v_xor_b32_e32 v3, s8, v7
	v_xor_b32_e32 v1, v1, v3
	v_sub_co_u32_e32 v10, vcc, v1, v3
                                        ; implicit-def: $vgpr4_vgpr5
	s_andn2_saveexec_b64 s[4:5], s[6:7]
	s_cbranch_execz .LBB8_22
.LBB8_24:                               ;   in Loop: Header=BB8_12 Depth=1
	v_mul_hi_u32 v1, v4, v43
	v_mul_lo_u32 v3, v1, s21
	v_sub_u32_e32 v3, v4, v3
	v_subrev_u32_e32 v4, s21, v3
	v_cmp_le_u32_e32 vcc, s21, v3
	v_cndmask_b32_e32 v3, v3, v4, vcc
	v_add_u32_e32 v4, 1, v1
	v_cndmask_b32_e32 v1, v1, v4, vcc
	v_add_u32_e32 v4, 1, v1
	v_cmp_le_u32_e32 vcc, s21, v3
	v_cndmask_b32_e32 v10, v1, v4, vcc
	s_or_b64 exec, exec, s[4:5]
	s_and_saveexec_b64 s[30:31], s[0:1]
	s_cbranch_execz .LBB8_11
.LBB8_25:                               ;   in Loop: Header=BB8_12 Depth=1
	v_add_u32_e32 v44, 1, v10
	v_mul_lo_u32 v10, v2, s14
	v_ashrrev_i32_e32 v11, 31, v10
	v_mad_u64_u32 v[4:5], s[4:5], v6, s59, v[8:9]
	v_lshlrev_b64 v[10:11], 3, v[10:11]
	v_mov_b32_e32 v1, s56
	v_add_co_u32_e32 v5, vcc, s55, v10
	v_addc_co_u32_e32 v45, vcc, v1, v11, vcc
	v_cmp_gt_i32_e64 s[4:5], v44, v4
	v_mad_u64_u32 v[6:7], s[6:7], s16, v6, v[8:9]
	s_mov_b64 s[34:35], 0
	v_mov_b32_e32 v8, v41
	s_branch .LBB8_27
.LBB8_26:                               ;   in Loop: Header=BB8_27 Depth=2
	v_add_u32_e32 v8, s57, v8
	v_cmp_le_i32_e32 vcc, s14, v8
	s_or_b64 s[34:35], vcc, s[34:35]
	s_andn2_b64 exec, exec, s[34:35]
	s_cbranch_execz .LBB8_11
.LBB8_27:                               ;   Parent Loop BB8_12 Depth=1
                                        ; =>  This Loop Header: Depth=2
                                        ;       Child Loop BB8_42 Depth 3
                                        ;         Child Loop BB8_54 Depth 4
                                        ;           Child Loop BB8_69 Depth 5
	v_or_b32_e64 v1, 0, s33
	v_mov_b32_e32 v9, v0
	v_cmp_ne_u64_e32 vcc, 0, v[0:1]
                                        ; implicit-def: $vgpr14_vgpr15
	s_and_saveexec_b64 s[6:7], vcc
	s_xor_b64 s[8:9], exec, s[6:7]
	s_cbranch_execz .LBB8_29
; %bb.28:                               ;   in Loop: Header=BB8_27 Depth=2
	s_add_u32 s6, s54, s33
	s_mov_b32 s36, s33
	s_mov_b32 s37, s33
	s_addc_u32 s7, s33, s33
	s_xor_b64 s[38:39], s[6:7], s[36:37]
	v_cvt_f32_u32_e32 v1, s38
	v_cvt_f32_u32_e32 v3, s39
	s_sub_u32 s6, 0, s38
	s_subb_u32 s7, 0, s39
	v_mac_f32_e32 v1, 0x4f800000, v3
	v_rcp_f32_e32 v1, v1
	v_mul_f32_e32 v1, 0x5f7ffffc, v1
	v_mul_f32_e32 v3, 0x2f800000, v1
	v_trunc_f32_e32 v3, v3
	v_mac_f32_e32 v1, 0xcf800000, v3
	v_cvt_u32_f32_e32 v3, v3
	v_cvt_u32_f32_e32 v1, v1
	v_mul_lo_u32 v7, s6, v3
	v_mul_hi_u32 v11, s6, v1
	v_mul_lo_u32 v10, s7, v1
	v_add_u32_e32 v7, v11, v7
	v_mul_lo_u32 v12, s6, v1
	v_add_u32_e32 v7, v7, v10
	v_mul_lo_u32 v11, v1, v7
	v_mul_hi_u32 v13, v1, v12
	v_mul_hi_u32 v10, v1, v7
	v_add_co_u32_e32 v11, vcc, v13, v11
	v_addc_co_u32_e32 v10, vcc, 0, v10, vcc
	v_mul_hi_u32 v14, v3, v12
	v_mul_lo_u32 v12, v3, v12
	v_add_co_u32_e32 v11, vcc, v11, v12
	v_mul_hi_u32 v13, v3, v7
	v_addc_co_u32_e32 v10, vcc, v10, v14, vcc
	v_addc_co_u32_e32 v11, vcc, 0, v13, vcc
	v_mul_lo_u32 v7, v3, v7
	v_add_co_u32_e32 v7, vcc, v10, v7
	v_addc_co_u32_e32 v10, vcc, 0, v11, vcc
	v_add_co_u32_e32 v1, vcc, v1, v7
	v_addc_co_u32_e32 v3, vcc, v3, v10, vcc
	v_mul_lo_u32 v7, s6, v3
	v_mul_hi_u32 v10, s6, v1
	v_add_u32_e32 v7, v10, v7
	v_mul_lo_u32 v10, s7, v1
	v_add_u32_e32 v7, v7, v10
	v_mul_lo_u32 v11, s6, v1
	v_mul_hi_u32 v12, v3, v11
	v_mul_lo_u32 v13, v3, v11
	v_mul_lo_u32 v15, v1, v7
	v_mul_hi_u32 v11, v1, v11
	v_mul_hi_u32 v14, v1, v7
	v_add_co_u32_e32 v11, vcc, v11, v15
	v_addc_co_u32_e32 v14, vcc, 0, v14, vcc
	v_add_co_u32_e32 v11, vcc, v11, v13
	v_mul_hi_u32 v10, v3, v7
	v_addc_co_u32_e32 v11, vcc, v14, v12, vcc
	v_addc_co_u32_e32 v10, vcc, 0, v10, vcc
	v_mul_lo_u32 v7, v3, v7
	v_add_co_u32_e32 v7, vcc, v11, v7
	v_addc_co_u32_e32 v10, vcc, 0, v10, vcc
	v_add_co_u32_e32 v1, vcc, v1, v7
	v_addc_co_u32_e32 v3, vcc, v3, v10, vcc
	v_ashrrev_i32_e64 v7, 31, 0
	v_add_co_u32_e32 v10, vcc, v8, v7
	v_addc_co_u32_e32 v11, vcc, 0, v7, vcc
	v_xor_b32_e32 v15, v10, v7
	v_xor_b32_e32 v14, v11, v7
	v_mad_u64_u32 v[10:11], s[6:7], v15, v3, 0
	v_mul_hi_u32 v12, v15, v1
	v_add_co_u32_e32 v16, vcc, v12, v10
	v_addc_co_u32_e32 v17, vcc, 0, v11, vcc
	v_mad_u64_u32 v[12:13], s[6:7], v14, v1, 0
	v_add_co_u32_e32 v1, vcc, v16, v12
	v_mad_u64_u32 v[10:11], s[6:7], v14, v3, 0
	v_addc_co_u32_e32 v1, vcc, v17, v13, vcc
	v_addc_co_u32_e32 v3, vcc, 0, v11, vcc
	v_add_co_u32_e32 v1, vcc, v1, v10
	v_addc_co_u32_e32 v3, vcc, 0, v3, vcc
	v_mul_lo_u32 v12, s39, v1
	v_mul_lo_u32 v13, s38, v3
	v_mad_u64_u32 v[10:11], s[6:7], s38, v1, 0
	v_add3_u32 v11, v11, v13, v12
	v_sub_u32_e32 v12, v14, v11
	v_mov_b32_e32 v13, s39
	v_sub_co_u32_e32 v10, vcc, v15, v10
	v_subb_co_u32_e64 v12, s[6:7], v12, v13, vcc
	v_subrev_co_u32_e64 v13, s[6:7], s38, v10
	v_subbrev_co_u32_e64 v12, s[6:7], 0, v12, s[6:7]
	v_cmp_le_u32_e64 s[6:7], s39, v12
	v_cndmask_b32_e64 v15, 0, -1, s[6:7]
	v_cmp_le_u32_e64 s[6:7], s38, v13
	v_cndmask_b32_e64 v13, 0, -1, s[6:7]
	v_cmp_eq_u32_e64 s[6:7], s39, v12
	v_cndmask_b32_e64 v12, v15, v13, s[6:7]
	v_add_co_u32_e64 v13, s[6:7], 2, v1
	v_subb_co_u32_e32 v11, vcc, v14, v11, vcc
	v_addc_co_u32_e64 v15, s[6:7], 0, v3, s[6:7]
	v_cmp_le_u32_e32 vcc, s39, v11
	v_add_co_u32_e64 v16, s[6:7], 1, v1
	v_cndmask_b32_e64 v14, 0, -1, vcc
	v_cmp_le_u32_e32 vcc, s38, v10
	v_addc_co_u32_e64 v17, s[6:7], 0, v3, s[6:7]
	v_cndmask_b32_e64 v10, 0, -1, vcc
	v_cmp_eq_u32_e32 vcc, s39, v11
	v_cmp_ne_u32_e64 s[6:7], 0, v12
	v_cndmask_b32_e32 v10, v14, v10, vcc
	v_cmp_ne_u32_e32 vcc, 0, v10
	v_cndmask_b32_e64 v10, v16, v13, s[6:7]
	v_cndmask_b32_e64 v12, v17, v15, s[6:7]
	v_cndmask_b32_e32 v1, v1, v10, vcc
	v_xor_b32_e32 v10, s37, v7
	v_xor_b32_e32 v7, s36, v7
	v_cndmask_b32_e32 v3, v3, v12, vcc
	v_xor_b32_e32 v1, v1, v7
	v_xor_b32_e32 v3, v3, v10
	v_sub_co_u32_e32 v14, vcc, v1, v7
	v_subb_co_u32_e32 v15, vcc, v3, v10, vcc
.LBB8_29:                               ;   in Loop: Header=BB8_27 Depth=2
	s_or_saveexec_b64 s[6:7], s[8:9]
	v_cvt_f32_u32_e32 v3, s54
	s_xor_b64 exec, exec, s[6:7]
	s_cbranch_execz .LBB8_31
; %bb.30:                               ;   in Loop: Header=BB8_27 Depth=2
	v_rcp_iflag_f32_e32 v1, v3
	s_sub_i32 s8, 0, s54
	v_mov_b32_e32 v15, v0
	v_mul_f32_e32 v1, 0x4f7ffffe, v1
	v_cvt_u32_f32_e32 v1, v1
	v_mul_lo_u32 v7, s8, v1
	v_mul_hi_u32 v7, v1, v7
	v_add_u32_e32 v1, v1, v7
	v_mul_hi_u32 v1, v8, v1
	v_mul_lo_u32 v7, v1, s54
	v_sub_u32_e32 v7, v8, v7
	v_add_u32_e32 v10, 1, v1
	v_subrev_u32_e32 v11, s54, v7
	v_cmp_le_u32_e32 vcc, s54, v7
	v_cndmask_b32_e32 v7, v7, v11, vcc
	v_cndmask_b32_e32 v1, v1, v10, vcc
	v_add_u32_e32 v10, 1, v1
	v_cmp_le_u32_e32 vcc, s54, v7
	v_cndmask_b32_e32 v14, v1, v10, vcc
.LBB8_31:                               ;   in Loop: Header=BB8_27 Depth=2
	s_or_b64 exec, exec, s[6:7]
	v_mul_lo_u32 v1, v15, s54
	v_mul_lo_u32 v7, v14, s33
	v_mad_u64_u32 v[10:11], s[6:7], v14, s54, 0
	v_add3_u32 v1, v11, v7, v1
	v_sub_co_u32_e32 v7, vcc, v8, v10
	v_subb_co_u32_e32 v1, vcc, 0, v1, vcc
	v_mul_lo_u32 v1, v1, s61
	v_mul_lo_u32 v12, v7, s60
	v_mad_u64_u32 v[10:11], s[6:7], v7, s61, 0
	v_add3_u32 v11, v11, v12, v1
	v_or_b32_e32 v1, s33, v11
	v_cmp_ne_u64_e32 vcc, 0, v[0:1]
                                        ; implicit-def: $vgpr16_vgpr17
	s_and_saveexec_b64 s[6:7], vcc
	s_xor_b64 s[8:9], exec, s[6:7]
	s_cbranch_execz .LBB8_33
; %bb.32:                               ;   in Loop: Header=BB8_27 Depth=2
	s_add_u32 s6, s54, s33
	s_mov_b32 s36, s33
	s_mov_b32 s37, s33
	s_addc_u32 s7, s33, s33
	s_xor_b64 s[38:39], s[6:7], s[36:37]
	v_cvt_f32_u32_e32 v1, s38
	v_cvt_f32_u32_e32 v7, s39
	s_sub_u32 s6, 0, s38
	s_subb_u32 s7, 0, s39
	v_mac_f32_e32 v1, 0x4f800000, v7
	v_rcp_f32_e32 v1, v1
	v_mul_f32_e32 v1, 0x5f7ffffc, v1
	v_mul_f32_e32 v7, 0x2f800000, v1
	v_trunc_f32_e32 v7, v7
	v_mac_f32_e32 v1, 0xcf800000, v7
	v_cvt_u32_f32_e32 v7, v7
	v_cvt_u32_f32_e32 v1, v1
	v_mul_lo_u32 v12, s6, v7
	v_mul_hi_u32 v15, s6, v1
	v_mul_lo_u32 v13, s7, v1
	v_add_u32_e32 v12, v15, v12
	v_mul_lo_u32 v16, s6, v1
	v_add_u32_e32 v12, v12, v13
	v_mul_lo_u32 v15, v1, v12
	v_mul_hi_u32 v17, v1, v16
	v_mul_hi_u32 v13, v1, v12
	v_add_co_u32_e32 v15, vcc, v17, v15
	v_addc_co_u32_e32 v13, vcc, 0, v13, vcc
	v_mul_hi_u32 v18, v7, v16
	v_mul_lo_u32 v16, v7, v16
	v_add_co_u32_e32 v15, vcc, v15, v16
	v_mul_hi_u32 v17, v7, v12
	v_addc_co_u32_e32 v13, vcc, v13, v18, vcc
	v_addc_co_u32_e32 v15, vcc, 0, v17, vcc
	v_mul_lo_u32 v12, v7, v12
	v_add_co_u32_e32 v12, vcc, v13, v12
	v_addc_co_u32_e32 v13, vcc, 0, v15, vcc
	v_add_co_u32_e32 v1, vcc, v1, v12
	v_addc_co_u32_e32 v7, vcc, v7, v13, vcc
	v_mul_lo_u32 v12, s6, v7
	v_mul_hi_u32 v13, s6, v1
	v_add_u32_e32 v12, v13, v12
	v_mul_lo_u32 v13, s7, v1
	v_add_u32_e32 v12, v12, v13
	v_mul_lo_u32 v15, s6, v1
	v_mul_hi_u32 v16, v7, v15
	v_mul_lo_u32 v17, v7, v15
	v_mul_lo_u32 v19, v1, v12
	v_mul_hi_u32 v15, v1, v15
	v_mul_hi_u32 v18, v1, v12
	v_add_co_u32_e32 v15, vcc, v15, v19
	v_addc_co_u32_e32 v18, vcc, 0, v18, vcc
	v_add_co_u32_e32 v15, vcc, v15, v17
	v_mul_hi_u32 v13, v7, v12
	v_addc_co_u32_e32 v15, vcc, v18, v16, vcc
	v_addc_co_u32_e32 v13, vcc, 0, v13, vcc
	v_mul_lo_u32 v12, v7, v12
	v_add_co_u32_e32 v12, vcc, v15, v12
	v_addc_co_u32_e32 v13, vcc, 0, v13, vcc
	v_add_co_u32_e32 v1, vcc, v1, v12
	v_addc_co_u32_e32 v7, vcc, v7, v13, vcc
	v_ashrrev_i32_e32 v15, 31, v11
	v_add_co_u32_e32 v10, vcc, v10, v15
	v_addc_co_u32_e32 v11, vcc, v11, v15, vcc
	v_xor_b32_e32 v17, v10, v15
	v_xor_b32_e32 v16, v11, v15
	v_mad_u64_u32 v[10:11], s[6:7], v17, v7, 0
	v_mul_hi_u32 v12, v17, v1
	v_add_co_u32_e32 v18, vcc, v12, v10
	v_addc_co_u32_e32 v19, vcc, 0, v11, vcc
	v_mad_u64_u32 v[12:13], s[6:7], v16, v1, 0
	v_add_co_u32_e32 v1, vcc, v18, v12
	v_mad_u64_u32 v[10:11], s[6:7], v16, v7, 0
	v_addc_co_u32_e32 v1, vcc, v19, v13, vcc
	v_addc_co_u32_e32 v7, vcc, 0, v11, vcc
	v_add_co_u32_e32 v1, vcc, v1, v10
	v_addc_co_u32_e32 v7, vcc, 0, v7, vcc
	v_mul_lo_u32 v12, s39, v1
	v_mul_lo_u32 v7, s38, v7
	v_mad_u64_u32 v[10:11], s[6:7], s38, v1, 0
	v_add3_u32 v7, v11, v7, v12
	v_sub_u32_e32 v11, v16, v7
	v_mov_b32_e32 v12, s39
	v_sub_co_u32_e32 v10, vcc, v17, v10
	v_subb_co_u32_e64 v11, s[6:7], v11, v12, vcc
	v_subrev_co_u32_e64 v12, s[6:7], s38, v10
	v_subbrev_co_u32_e64 v11, s[6:7], 0, v11, s[6:7]
	v_cmp_le_u32_e64 s[6:7], s39, v11
	v_subb_co_u32_e32 v7, vcc, v16, v7, vcc
	v_cndmask_b32_e64 v13, 0, -1, s[6:7]
	v_cmp_le_u32_e64 s[6:7], s38, v12
	v_cmp_le_u32_e32 vcc, s39, v7
	v_cndmask_b32_e64 v12, 0, -1, s[6:7]
	v_cmp_eq_u32_e64 s[6:7], s39, v11
	v_cndmask_b32_e64 v16, 0, -1, vcc
	v_cmp_le_u32_e32 vcc, s38, v10
	v_cndmask_b32_e64 v11, v13, v12, s[6:7]
	v_cndmask_b32_e64 v10, 0, -1, vcc
	v_cmp_eq_u32_e32 vcc, s39, v7
	v_add_co_u32_e64 v12, s[6:7], 2, v1
	v_add_co_u32_e64 v13, s[6:7], 1, v1
	v_cndmask_b32_e32 v7, v16, v10, vcc
	v_cmp_ne_u32_e32 vcc, 0, v11
	v_cndmask_b32_e32 v10, v13, v12, vcc
	v_cmp_ne_u32_e32 vcc, 0, v7
	v_cndmask_b32_e32 v1, v1, v10, vcc
	v_xor_b32_e32 v7, s36, v15
	v_xor_b32_e32 v1, v1, v7
	v_sub_co_u32_e32 v16, vcc, v1, v7
                                        ; implicit-def: $vgpr10_vgpr11
.LBB8_33:                               ;   in Loop: Header=BB8_27 Depth=2
	s_andn2_saveexec_b64 s[6:7], s[8:9]
	s_cbranch_execz .LBB8_35
; %bb.34:                               ;   in Loop: Header=BB8_27 Depth=2
	v_rcp_iflag_f32_e32 v1, v3
	s_sub_i32 s8, 0, s54
	v_mul_f32_e32 v1, 0x4f7ffffe, v1
	v_cvt_u32_f32_e32 v1, v1
	v_mul_lo_u32 v7, s8, v1
	v_mul_hi_u32 v7, v1, v7
	v_add_u32_e32 v1, v1, v7
	v_mul_hi_u32 v1, v10, v1
	v_mul_lo_u32 v7, v1, s54
	v_sub_u32_e32 v7, v10, v7
	v_add_u32_e32 v11, 1, v1
	v_subrev_u32_e32 v10, s54, v7
	v_cmp_le_u32_e32 vcc, s54, v7
	v_cndmask_b32_e32 v7, v7, v10, vcc
	v_cndmask_b32_e32 v1, v1, v11, vcc
	v_add_u32_e32 v10, 1, v1
	v_cmp_le_u32_e32 vcc, s54, v7
	v_cndmask_b32_e32 v16, v1, v10, vcc
.LBB8_35:                               ;   in Loop: Header=BB8_27 Depth=2
	s_or_b64 exec, exec, s[6:7]
	v_add_co_u32_e32 v1, vcc, 1, v8
	v_addc_co_u32_e64 v7, s[6:7], 0, 0, vcc
	v_mul_lo_u32 v12, v1, s60
	v_mul_lo_u32 v7, v7, s61
	v_mad_u64_u32 v[10:11], s[6:7], v1, s61, -1
	v_add3_u32 v11, v7, v11, v12
	v_or_b32_e32 v1, s33, v11
	v_cmp_ne_u64_e32 vcc, 0, v[0:1]
                                        ; implicit-def: $vgpr12_vgpr13
	s_and_saveexec_b64 s[6:7], vcc
	s_xor_b64 s[8:9], exec, s[6:7]
	s_cbranch_execnz .LBB8_38
; %bb.36:                               ;   in Loop: Header=BB8_27 Depth=2
	s_andn2_saveexec_b64 s[6:7], s[8:9]
	s_cbranch_execnz .LBB8_39
.LBB8_37:                               ;   in Loop: Header=BB8_27 Depth=2
	s_or_b64 exec, exec, s[6:7]
	s_andn2_b64 vcc, exec, s[2:3]
	s_cbranch_vccnz .LBB8_26
	s_branch .LBB8_40
.LBB8_38:                               ;   in Loop: Header=BB8_27 Depth=2
	s_add_u32 s6, s54, s33
	s_mov_b32 s36, s33
	s_mov_b32 s37, s33
	s_addc_u32 s7, s33, s33
	s_xor_b64 s[38:39], s[6:7], s[36:37]
	v_cvt_f32_u32_e32 v1, s38
	v_cvt_f32_u32_e32 v3, s39
	s_sub_u32 s6, 0, s38
	s_subb_u32 s7, 0, s39
	v_mac_f32_e32 v1, 0x4f800000, v3
	v_rcp_f32_e32 v1, v1
	v_mul_f32_e32 v1, 0x5f7ffffc, v1
	v_mul_f32_e32 v3, 0x2f800000, v1
	v_trunc_f32_e32 v3, v3
	v_mac_f32_e32 v1, 0xcf800000, v3
	v_cvt_u32_f32_e32 v3, v3
	v_cvt_u32_f32_e32 v1, v1
	v_mul_lo_u32 v7, s6, v3
	v_mul_hi_u32 v13, s6, v1
	v_mul_lo_u32 v12, s7, v1
	v_add_u32_e32 v7, v13, v7
	v_mul_lo_u32 v15, s6, v1
	v_add_u32_e32 v7, v7, v12
	v_mul_lo_u32 v13, v1, v7
	v_mul_hi_u32 v17, v1, v15
	v_mul_hi_u32 v12, v1, v7
	v_add_co_u32_e32 v13, vcc, v17, v13
	v_addc_co_u32_e32 v12, vcc, 0, v12, vcc
	v_mul_hi_u32 v18, v3, v15
	v_mul_lo_u32 v15, v3, v15
	v_add_co_u32_e32 v13, vcc, v13, v15
	v_mul_hi_u32 v17, v3, v7
	v_addc_co_u32_e32 v12, vcc, v12, v18, vcc
	v_addc_co_u32_e32 v13, vcc, 0, v17, vcc
	v_mul_lo_u32 v7, v3, v7
	v_add_co_u32_e32 v7, vcc, v12, v7
	v_addc_co_u32_e32 v12, vcc, 0, v13, vcc
	v_add_co_u32_e32 v1, vcc, v1, v7
	v_addc_co_u32_e32 v3, vcc, v3, v12, vcc
	v_mul_lo_u32 v7, s6, v3
	v_mul_hi_u32 v12, s6, v1
	v_add_u32_e32 v7, v12, v7
	v_mul_lo_u32 v12, s7, v1
	v_add_u32_e32 v7, v7, v12
	v_mul_lo_u32 v13, s6, v1
	v_mul_hi_u32 v15, v3, v13
	v_mul_lo_u32 v17, v3, v13
	v_mul_lo_u32 v19, v1, v7
	v_mul_hi_u32 v13, v1, v13
	v_mul_hi_u32 v18, v1, v7
	v_add_co_u32_e32 v13, vcc, v13, v19
	v_addc_co_u32_e32 v18, vcc, 0, v18, vcc
	v_add_co_u32_e32 v13, vcc, v13, v17
	v_mul_hi_u32 v12, v3, v7
	v_addc_co_u32_e32 v13, vcc, v18, v15, vcc
	v_addc_co_u32_e32 v12, vcc, 0, v12, vcc
	v_mul_lo_u32 v7, v3, v7
	v_add_co_u32_e32 v7, vcc, v13, v7
	v_addc_co_u32_e32 v12, vcc, 0, v12, vcc
	v_add_co_u32_e32 v1, vcc, v1, v7
	v_addc_co_u32_e32 v3, vcc, v3, v12, vcc
	v_ashrrev_i32_e32 v7, 31, v11
	v_add_co_u32_e32 v10, vcc, v10, v7
	v_addc_co_u32_e32 v11, vcc, v11, v7, vcc
	v_xor_b32_e32 v17, v10, v7
	v_xor_b32_e32 v15, v11, v7
	v_mad_u64_u32 v[10:11], s[6:7], v17, v3, 0
	v_mul_hi_u32 v12, v17, v1
	v_add_co_u32_e32 v18, vcc, v12, v10
	v_addc_co_u32_e32 v19, vcc, 0, v11, vcc
	v_mad_u64_u32 v[12:13], s[6:7], v15, v1, 0
	v_add_co_u32_e32 v1, vcc, v18, v12
	v_mad_u64_u32 v[10:11], s[6:7], v15, v3, 0
	v_addc_co_u32_e32 v1, vcc, v19, v13, vcc
	v_addc_co_u32_e32 v3, vcc, 0, v11, vcc
	v_add_co_u32_e32 v1, vcc, v1, v10
	v_addc_co_u32_e32 v3, vcc, 0, v3, vcc
	v_mul_lo_u32 v12, s39, v1
	v_mul_lo_u32 v3, s38, v3
	v_mad_u64_u32 v[10:11], s[6:7], s38, v1, 0
	v_add3_u32 v3, v11, v3, v12
	v_sub_u32_e32 v11, v15, v3
	v_mov_b32_e32 v12, s39
	v_sub_co_u32_e32 v10, vcc, v17, v10
	v_subb_co_u32_e64 v11, s[6:7], v11, v12, vcc
	v_subrev_co_u32_e64 v12, s[6:7], s38, v10
	v_subbrev_co_u32_e64 v11, s[6:7], 0, v11, s[6:7]
	v_cmp_le_u32_e64 s[6:7], s39, v11
	v_subb_co_u32_e32 v3, vcc, v15, v3, vcc
	v_cndmask_b32_e64 v13, 0, -1, s[6:7]
	v_cmp_le_u32_e64 s[6:7], s38, v12
	v_cmp_le_u32_e32 vcc, s39, v3
	v_cndmask_b32_e64 v12, 0, -1, s[6:7]
	v_cmp_eq_u32_e64 s[6:7], s39, v11
	v_cndmask_b32_e64 v15, 0, -1, vcc
	v_cmp_le_u32_e32 vcc, s38, v10
	v_cndmask_b32_e64 v11, v13, v12, s[6:7]
	v_cndmask_b32_e64 v10, 0, -1, vcc
	v_cmp_eq_u32_e32 vcc, s39, v3
	v_add_co_u32_e64 v12, s[6:7], 2, v1
	v_add_co_u32_e64 v13, s[6:7], 1, v1
	v_cndmask_b32_e32 v3, v15, v10, vcc
	v_cmp_ne_u32_e32 vcc, 0, v11
	v_cndmask_b32_e32 v10, v13, v12, vcc
	v_cmp_ne_u32_e32 vcc, 0, v3
	v_cndmask_b32_e32 v1, v1, v10, vcc
	v_xor_b32_e32 v3, s36, v7
	v_xor_b32_e32 v1, v1, v3
	v_sub_co_u32_e32 v12, vcc, v1, v3
                                        ; implicit-def: $vgpr3
                                        ; implicit-def: $vgpr10_vgpr11
	s_andn2_saveexec_b64 s[6:7], s[8:9]
	s_cbranch_execz .LBB8_37
.LBB8_39:                               ;   in Loop: Header=BB8_27 Depth=2
	v_rcp_iflag_f32_e32 v1, v3
	s_sub_i32 s8, 0, s54
	v_mul_f32_e32 v1, 0x4f7ffffe, v1
	v_cvt_u32_f32_e32 v1, v1
	v_mul_lo_u32 v3, s8, v1
	v_mul_hi_u32 v3, v1, v3
	v_add_u32_e32 v1, v1, v3
	v_mul_hi_u32 v1, v10, v1
	v_mul_lo_u32 v3, v1, s54
	v_sub_u32_e32 v3, v10, v3
	v_add_u32_e32 v7, 1, v1
	v_subrev_u32_e32 v10, s54, v3
	v_cmp_le_u32_e32 vcc, s54, v3
	v_cndmask_b32_e32 v3, v3, v10, vcc
	v_cndmask_b32_e32 v1, v1, v7, vcc
	v_add_u32_e32 v7, 1, v1
	v_cmp_le_u32_e32 vcc, s54, v3
	v_cndmask_b32_e32 v12, v1, v7, vcc
	s_or_b64 exec, exec, s[6:7]
	s_andn2_b64 vcc, exec, s[2:3]
	s_cbranch_vccnz .LBB8_26
.LBB8_40:                               ;   in Loop: Header=BB8_27 Depth=2
	v_lshlrev_b64 v[10:11], 3, v[8:9]
	v_add_co_u32_e32 v10, vcc, v5, v10
	v_add_u32_e32 v7, 1, v12
	v_addc_co_u32_e32 v11, vcc, v45, v11, vcc
	v_mad_u64_u32 v[12:13], s[6:7], v14, s61, v[16:17]
	v_add_u32_e32 v1, v6, v14
	v_ashrrev_i32_e32 v13, 31, v12
	v_mad_u64_u32 v[14:15], s[8:9], s17, v1, v[16:17]
	v_add_co_u32_e32 v1, vcc, 1, v12
	v_addc_co_u32_e32 v3, vcc, 0, v13, vcc
	v_mul_lo_u32 v3, s54, v3
	v_mul_lo_u32 v9, s33, v1
	v_mad_u64_u32 v[16:17], s[8:9], s54, v1, -1
	v_cmp_gt_i32_e64 s[6:7], v7, v12
	v_add3_u32 v17, v9, v17, v3
	s_mov_b64 s[36:37], s[22:23]
	s_mov_b32 s38, s20
	s_branch .LBB8_42
.LBB8_41:                               ;   in Loop: Header=BB8_42 Depth=3
	s_or_b64 exec, exec, s[40:41]
	s_add_i32 s38, s38, 1
	s_add_u32 s36, s36, s24
	v_cmp_lt_i32_e32 vcc, s38, v40
	s_addc_u32 s37, s37, s25
	s_cbranch_vccz .LBB8_26
.LBB8_42:                               ;   Parent Loop BB8_12 Depth=1
                                        ;     Parent Loop BB8_27 Depth=2
                                        ; =>    This Loop Header: Depth=3
                                        ;         Child Loop BB8_54 Depth 4
                                        ;           Child Loop BB8_69 Depth 5
	s_ashr_i32 s39, s38, 31
	s_add_u32 s8, s38, 1
	s_addc_u32 s9, s39, 0
	s_mul_i32 s29, s8, s11
	s_mul_hi_u32 s40, s8, s10
	s_add_i32 s29, s40, s29
	s_mul_i32 s9, s9, s10
	s_add_i32 s29, s29, s9
	s_mul_i32 s8, s8, s10
	s_add_u32 s40, s8, -1
	s_addc_u32 s41, s29, -1
	s_or_b64 s[8:9], s[40:41], s[18:19]
	s_mov_b32 s29, s9
	s_cmp_lg_u64 s[28:29], 0
	s_cbranch_scc0 .LBB8_81
; %bb.43:                               ;   in Loop: Header=BB8_42 Depth=3
	s_add_u32 s8, s18, s19
	s_mov_b32 s42, s19
	s_mov_b32 s43, s19
	s_addc_u32 s9, s19, s19
	s_xor_b64 s[44:45], s[8:9], s[42:43]
	v_cvt_f32_u32_e32 v1, s44
	v_cvt_f32_u32_e32 v3, s45
	s_sub_u32 s8, 0, s44
	s_subb_u32 s9, 0, s45
	s_ashr_i32 s46, s41, 31
	v_mac_f32_e32 v1, 0x4f800000, v3
	v_rcp_f32_e32 v1, v1
	s_mov_b32 s47, s46
	v_mul_f32_e32 v1, 0x5f7ffffc, v1
	v_mul_f32_e32 v3, 0x2f800000, v1
	v_trunc_f32_e32 v3, v3
	v_mac_f32_e32 v1, 0xcf800000, v3
	v_cvt_u32_f32_e32 v3, v3
	v_cvt_u32_f32_e32 v1, v1
	v_mul_lo_u32 v9, s8, v3
	v_mul_hi_u32 v18, s8, v1
	v_mul_lo_u32 v15, s9, v1
	v_add_u32_e32 v9, v18, v9
	v_mul_lo_u32 v19, s8, v1
	v_add_u32_e32 v9, v9, v15
	v_mul_lo_u32 v18, v1, v9
	v_mul_hi_u32 v20, v1, v19
	v_mul_hi_u32 v15, v1, v9
	v_add_co_u32_e32 v18, vcc, v20, v18
	v_addc_co_u32_e32 v15, vcc, 0, v15, vcc
	v_mul_hi_u32 v21, v3, v19
	v_mul_lo_u32 v19, v3, v19
	v_add_co_u32_e32 v18, vcc, v18, v19
	v_mul_hi_u32 v20, v3, v9
	v_addc_co_u32_e32 v15, vcc, v15, v21, vcc
	v_addc_co_u32_e32 v18, vcc, 0, v20, vcc
	v_mul_lo_u32 v9, v3, v9
	v_add_co_u32_e32 v9, vcc, v15, v9
	v_addc_co_u32_e32 v15, vcc, 0, v18, vcc
	v_add_co_u32_e32 v1, vcc, v1, v9
	v_addc_co_u32_e32 v3, vcc, v3, v15, vcc
	v_mul_lo_u32 v9, s8, v3
	v_mul_hi_u32 v15, s8, v1
	v_add_u32_e32 v9, v15, v9
	v_mul_lo_u32 v15, s9, v1
	v_add_u32_e32 v9, v9, v15
	v_mul_lo_u32 v18, s8, v1
	v_mul_hi_u32 v19, v3, v18
	v_mul_lo_u32 v20, v3, v18
	v_mul_lo_u32 v22, v1, v9
	v_mul_hi_u32 v18, v1, v18
	v_mul_hi_u32 v21, v1, v9
	v_add_co_u32_e32 v18, vcc, v18, v22
	v_addc_co_u32_e32 v21, vcc, 0, v21, vcc
	v_add_co_u32_e32 v18, vcc, v18, v20
	v_mul_hi_u32 v15, v3, v9
	v_addc_co_u32_e32 v18, vcc, v21, v19, vcc
	v_addc_co_u32_e32 v15, vcc, 0, v15, vcc
	v_mul_lo_u32 v9, v3, v9
	v_add_co_u32_e32 v9, vcc, v18, v9
	v_addc_co_u32_e32 v15, vcc, 0, v15, vcc
	s_add_u32 s8, s40, s46
	v_add_co_u32_e32 v1, vcc, v1, v9
	s_addc_u32 s9, s41, s46
	v_addc_co_u32_e32 v3, vcc, v3, v15, vcc
	s_xor_b64 s[48:49], s[8:9], s[46:47]
	v_mul_lo_u32 v15, s48, v3
	v_mul_hi_u32 v18, s48, v1
	v_mul_hi_u32 v9, s48, v3
	v_add_co_u32_e32 v15, vcc, v18, v15
	v_addc_co_u32_e32 v9, vcc, 0, v9, vcc
	v_mul_hi_u32 v19, s49, v1
	v_mul_lo_u32 v1, s49, v1
	v_add_co_u32_e32 v1, vcc, v15, v1
	v_mul_hi_u32 v18, s49, v3
	v_addc_co_u32_e32 v1, vcc, v9, v19, vcc
	v_addc_co_u32_e32 v9, vcc, 0, v18, vcc
	v_mul_lo_u32 v3, s49, v3
	v_add_co_u32_e32 v1, vcc, v1, v3
	v_addc_co_u32_e32 v3, vcc, 0, v9, vcc
	v_mul_lo_u32 v3, s44, v3
	v_mul_hi_u32 v9, s44, v1
	v_add_u32_e32 v3, v9, v3
	v_mul_lo_u32 v9, s45, v1
	v_add_u32_e32 v3, v3, v9
	v_mul_lo_u32 v15, s44, v1
	v_sub_u32_e32 v9, s49, v3
	v_mov_b32_e32 v18, s45
	v_sub_co_u32_e32 v15, vcc, s48, v15
	v_subb_co_u32_e64 v9, s[8:9], v9, v18, vcc
	v_subrev_co_u32_e64 v18, s[8:9], s44, v15
	v_subbrev_co_u32_e64 v9, s[8:9], 0, v9, s[8:9]
	v_cmp_le_u32_e64 s[8:9], s45, v9
	v_cndmask_b32_e64 v19, 0, -1, s[8:9]
	v_cmp_le_u32_e64 s[8:9], s44, v18
	v_cndmask_b32_e64 v18, 0, -1, s[8:9]
	v_cmp_eq_u32_e64 s[8:9], s45, v9
	v_cndmask_b32_e64 v9, v19, v18, s[8:9]
	v_add_co_u32_e64 v18, s[8:9], 1, v1
	v_add_co_u32_e64 v19, s[8:9], 2, v1
	v_cmp_ne_u32_e64 s[8:9], 0, v9
	v_cndmask_b32_e64 v9, v18, v19, s[8:9]
	v_mov_b32_e32 v18, s49
	v_subb_co_u32_e32 v3, vcc, v18, v3, vcc
	v_cmp_le_u32_e32 vcc, s45, v3
	v_cndmask_b32_e64 v18, 0, -1, vcc
	v_cmp_le_u32_e32 vcc, s44, v15
	v_cndmask_b32_e64 v15, 0, -1, vcc
	v_cmp_eq_u32_e32 vcc, s45, v3
	v_cndmask_b32_e32 v3, v18, v15, vcc
	v_cmp_ne_u32_e32 vcc, 0, v3
	v_cndmask_b32_e32 v1, v1, v9, vcc
	s_xor_b64 s[8:9], s[46:47], s[42:43]
	v_xor_b32_e32 v1, s8, v1
	v_subrev_co_u32_e32 v18, vcc, s8, v1
	v_cvt_f32_u32_e32 v1, s18
	s_cbranch_execnz .LBB8_45
.LBB8_44:                               ;   in Loop: Header=BB8_42 Depth=3
	v_rcp_iflag_f32_e32 v3, v1
	s_sub_i32 s8, 0, s18
	v_mul_f32_e32 v3, 0x4f7ffffe, v3
	v_cvt_u32_f32_e32 v3, v3
	v_mul_lo_u32 v9, s8, v3
	v_mul_hi_u32 v9, v3, v9
	v_add_u32_e32 v3, v3, v9
	v_mul_hi_u32 v3, s40, v3
	v_mul_lo_u32 v15, v3, s18
	v_sub_u32_e32 v15, s40, v15
	v_add_u32_e32 v9, 1, v3
	v_subrev_u32_e32 v18, s18, v15
	v_cmp_le_u32_e32 vcc, s18, v15
	v_cndmask_b32_e32 v15, v15, v18, vcc
	v_cndmask_b32_e32 v3, v3, v9, vcc
	v_add_u32_e32 v9, 1, v3
	v_cmp_le_u32_e32 vcc, s18, v15
	v_cndmask_b32_e32 v18, v3, v9, vcc
.LBB8_45:                               ;   in Loop: Header=BB8_42 Depth=3
	s_or_b64 s[8:9], s[38:39], s[18:19]
	s_mov_b32 s29, s9
	s_cmp_lg_u64 s[28:29], 0
	s_cbranch_scc0 .LBB8_82
; %bb.46:                               ;   in Loop: Header=BB8_42 Depth=3
	s_add_u32 s8, s18, s19
	s_mov_b32 s40, s19
	s_mov_b32 s41, s19
	s_addc_u32 s9, s19, s19
	s_xor_b64 s[42:43], s[8:9], s[40:41]
	v_cvt_f32_u32_e32 v3, s42
	v_cvt_f32_u32_e32 v9, s43
	s_sub_u32 s8, 0, s42
	s_subb_u32 s9, 0, s43
	v_mac_f32_e32 v3, 0x4f800000, v9
	v_rcp_f32_e32 v3, v3
	v_mul_f32_e32 v3, 0x5f7ffffc, v3
	v_mul_f32_e32 v9, 0x2f800000, v3
	v_trunc_f32_e32 v9, v9
	v_mac_f32_e32 v3, 0xcf800000, v9
	v_cvt_u32_f32_e32 v9, v9
	v_cvt_u32_f32_e32 v3, v3
	v_readfirstlane_b32 s29, v9
	v_readfirstlane_b32 s44, v3
	s_mul_i32 s45, s8, s29
	s_mul_hi_u32 s47, s8, s44
	s_mul_i32 s46, s9, s44
	s_add_i32 s45, s47, s45
	s_add_i32 s45, s45, s46
	s_mul_i32 s48, s8, s44
	s_mul_hi_u32 s46, s44, s45
	s_mul_i32 s47, s44, s45
	s_mul_hi_u32 s44, s44, s48
	s_add_u32 s44, s44, s47
	s_addc_u32 s46, 0, s46
	s_mul_hi_u32 s49, s29, s48
	s_mul_i32 s48, s29, s48
	s_add_u32 s44, s44, s48
	s_mul_hi_u32 s47, s29, s45
	s_addc_u32 s44, s46, s49
	s_addc_u32 s46, s47, 0
	s_mul_i32 s45, s29, s45
	s_add_u32 s44, s44, s45
	s_addc_u32 s45, 0, s46
	v_add_co_u32_e32 v3, vcc, s44, v3
	s_cmp_lg_u64 vcc, 0
	s_addc_u32 s29, s29, s45
	v_readfirstlane_b32 s45, v3
	s_mul_i32 s44, s8, s29
	s_mul_hi_u32 s46, s8, s45
	s_add_i32 s44, s46, s44
	s_mul_i32 s9, s9, s45
	s_add_i32 s44, s44, s9
	s_mul_i32 s8, s8, s45
	s_mul_hi_u32 s46, s29, s8
	s_mul_i32 s47, s29, s8
	s_mul_i32 s49, s45, s44
	s_mul_hi_u32 s8, s45, s8
	s_mul_hi_u32 s48, s45, s44
	s_add_u32 s8, s8, s49
	s_addc_u32 s45, 0, s48
	s_add_u32 s8, s8, s47
	s_mul_hi_u32 s9, s29, s44
	s_addc_u32 s8, s45, s46
	s_addc_u32 s9, s9, 0
	s_mul_i32 s44, s29, s44
	s_add_u32 s8, s8, s44
	s_addc_u32 s9, 0, s9
	v_add_co_u32_e32 v3, vcc, s8, v3
	s_cmp_lg_u64 vcc, 0
	s_addc_u32 s29, s29, s9
	s_ashr_i32 s44, s39, 31
	s_add_u32 s8, s38, s44
	s_mov_b32 s45, s44
	s_addc_u32 s9, s39, s44
	s_xor_b64 s[46:47], s[8:9], s[44:45]
	v_readfirstlane_b32 s48, v3
	s_mul_i32 s9, s46, s29
	s_mul_hi_u32 s49, s46, s48
	s_mul_hi_u32 s8, s46, s29
	s_add_u32 s9, s49, s9
	s_addc_u32 s8, 0, s8
	s_mul_hi_u32 s50, s47, s48
	s_mul_i32 s48, s47, s48
	s_add_u32 s9, s9, s48
	s_mul_hi_u32 s49, s47, s29
	s_addc_u32 s8, s8, s50
	s_addc_u32 s9, s49, 0
	s_mul_i32 s29, s47, s29
	s_add_u32 s29, s8, s29
	s_addc_u32 s48, 0, s9
	s_mul_i32 s8, s42, s48
	s_mul_hi_u32 s9, s42, s29
	s_add_i32 s8, s9, s8
	s_mul_i32 s9, s43, s29
	s_add_i32 s49, s8, s9
	s_mul_i32 s9, s42, s29
	v_mov_b32_e32 v3, s9
	s_sub_i32 s8, s47, s49
	v_sub_co_u32_e32 v3, vcc, s46, v3
	s_cmp_lg_u64 vcc, 0
	s_subb_u32 s46, s8, s43
	v_subrev_co_u32_e64 v9, s[8:9], s42, v3
	s_cmp_lg_u64 s[8:9], 0
	s_subb_u32 s8, s46, 0
	s_cmp_ge_u32 s8, s43
	v_readfirstlane_b32 s46, v9
	s_cselect_b32 s9, -1, 0
	s_cmp_ge_u32 s46, s42
	s_cselect_b32 s46, -1, 0
	s_cmp_eq_u32 s8, s43
	s_cselect_b32 s8, s46, s9
	s_add_u32 s9, s29, 1
	s_addc_u32 s46, s48, 0
	s_add_u32 s50, s29, 2
	s_addc_u32 s51, s48, 0
	s_cmp_lg_u32 s8, 0
	s_cselect_b32 s8, s50, s9
	s_cselect_b32 s9, s51, s46
	s_cmp_lg_u64 vcc, 0
	s_subb_u32 s46, s47, s49
	s_cmp_ge_u32 s46, s43
	v_readfirstlane_b32 s49, v3
	s_cselect_b32 s47, -1, 0
	s_cmp_ge_u32 s49, s42
	s_cselect_b32 s42, -1, 0
	s_cmp_eq_u32 s46, s43
	s_cselect_b32 s42, s42, s47
	s_cmp_lg_u32 s42, 0
	s_cselect_b32 s9, s9, s48
	s_cselect_b32 s8, s8, s29
	s_xor_b64 s[40:41], s[44:45], s[40:41]
	s_xor_b64 s[8:9], s[8:9], s[40:41]
	s_sub_u32 s42, s8, s40
	s_subb_u32 s43, s9, s41
	s_cbranch_execnz .LBB8_48
.LBB8_47:                               ;   in Loop: Header=BB8_42 Depth=3
	v_rcp_iflag_f32_e32 v3, v1
	s_sub_i32 s8, 0, s18
	s_mov_b32 s43, s28
	v_mul_f32_e32 v3, 0x4f7ffffe, v3
	v_cvt_u32_f32_e32 v3, v3
	v_readfirstlane_b32 s9, v3
	s_mul_i32 s8, s8, s9
	s_mul_hi_u32 s8, s9, s8
	s_add_i32 s9, s9, s8
	s_mul_hi_u32 s8, s38, s9
	s_mul_i32 s29, s8, s18
	s_sub_i32 s29, s38, s29
	s_add_i32 s9, s8, 1
	s_sub_i32 s40, s29, s18
	s_cmp_ge_u32 s29, s18
	s_cselect_b32 s8, s9, s8
	s_cselect_b32 s29, s40, s29
	s_add_i32 s9, s8, 1
	s_cmp_ge_u32 s29, s18
	s_cselect_b32 s42, s9, s8
.LBB8_48:                               ;   in Loop: Header=BB8_42 Depth=3
	s_mul_i32 s8, s42, s19
	s_mul_hi_u32 s9, s42, s18
	s_add_i32 s8, s9, s8
	s_mul_i32 s9, s43, s18
	s_add_i32 s8, s8, s9
	s_mul_i32 s9, s42, s18
	s_sub_u32 s9, s38, s9
	s_subb_u32 s8, s39, s8
	s_mul_i32 s29, s9, s11
	s_mul_hi_u32 s39, s9, s10
	s_add_i32 s29, s39, s29
	s_mul_i32 s8, s8, s10
	s_add_i32 s41, s29, s8
	s_mul_i32 s40, s9, s10
	s_or_b64 s[8:9], s[40:41], s[18:19]
	s_mov_b32 s29, s9
	s_cmp_lg_u64 s[28:29], 0
	s_cbranch_scc0 .LBB8_83
; %bb.49:                               ;   in Loop: Header=BB8_42 Depth=3
	s_add_u32 s8, s18, s19
	s_mov_b32 s44, s19
	s_mov_b32 s45, s19
	s_addc_u32 s9, s19, s19
	s_xor_b64 s[46:47], s[8:9], s[44:45]
	v_cvt_f32_u32_e32 v3, s46
	v_cvt_f32_u32_e32 v9, s47
	s_sub_u32 s8, 0, s46
	s_subb_u32 s9, 0, s47
	s_ashr_i32 s48, s41, 31
	v_mac_f32_e32 v3, 0x4f800000, v9
	v_rcp_f32_e32 v3, v3
	s_mov_b32 s49, s48
	v_mul_f32_e32 v3, 0x5f7ffffc, v3
	v_mul_f32_e32 v9, 0x2f800000, v3
	v_trunc_f32_e32 v9, v9
	v_mac_f32_e32 v3, 0xcf800000, v9
	v_cvt_u32_f32_e32 v9, v9
	v_cvt_u32_f32_e32 v3, v3
	v_mul_lo_u32 v15, s8, v9
	v_mul_hi_u32 v20, s8, v3
	v_mul_lo_u32 v19, s9, v3
	v_add_u32_e32 v15, v20, v15
	v_mul_lo_u32 v21, s8, v3
	v_add_u32_e32 v15, v15, v19
	v_mul_lo_u32 v20, v3, v15
	v_mul_hi_u32 v22, v3, v21
	v_mul_hi_u32 v19, v3, v15
	v_add_co_u32_e32 v20, vcc, v22, v20
	v_addc_co_u32_e32 v19, vcc, 0, v19, vcc
	v_mul_hi_u32 v23, v9, v21
	v_mul_lo_u32 v21, v9, v21
	v_add_co_u32_e32 v20, vcc, v20, v21
	v_mul_hi_u32 v22, v9, v15
	v_addc_co_u32_e32 v19, vcc, v19, v23, vcc
	v_addc_co_u32_e32 v20, vcc, 0, v22, vcc
	v_mul_lo_u32 v15, v9, v15
	v_add_co_u32_e32 v15, vcc, v19, v15
	v_addc_co_u32_e32 v19, vcc, 0, v20, vcc
	v_add_co_u32_e32 v3, vcc, v3, v15
	v_addc_co_u32_e32 v9, vcc, v9, v19, vcc
	v_mul_lo_u32 v15, s8, v9
	v_mul_hi_u32 v19, s8, v3
	v_add_u32_e32 v15, v19, v15
	v_mul_lo_u32 v19, s9, v3
	v_add_u32_e32 v15, v15, v19
	v_mul_lo_u32 v20, s8, v3
	v_mul_hi_u32 v21, v9, v20
	v_mul_lo_u32 v22, v9, v20
	v_mul_lo_u32 v24, v3, v15
	v_mul_hi_u32 v20, v3, v20
	v_mul_hi_u32 v23, v3, v15
	v_add_co_u32_e32 v20, vcc, v20, v24
	v_addc_co_u32_e32 v23, vcc, 0, v23, vcc
	v_add_co_u32_e32 v20, vcc, v20, v22
	v_mul_hi_u32 v19, v9, v15
	v_addc_co_u32_e32 v20, vcc, v23, v21, vcc
	v_addc_co_u32_e32 v19, vcc, 0, v19, vcc
	v_mul_lo_u32 v15, v9, v15
	v_add_co_u32_e32 v15, vcc, v20, v15
	v_addc_co_u32_e32 v19, vcc, 0, v19, vcc
	s_add_u32 s8, s40, s48
	v_add_co_u32_e32 v3, vcc, v3, v15
	s_addc_u32 s9, s41, s48
	v_addc_co_u32_e32 v9, vcc, v9, v19, vcc
	s_xor_b64 s[50:51], s[8:9], s[48:49]
	v_mul_lo_u32 v19, s50, v9
	v_mul_hi_u32 v20, s50, v3
	v_mul_hi_u32 v15, s50, v9
	v_add_co_u32_e32 v19, vcc, v20, v19
	v_addc_co_u32_e32 v15, vcc, 0, v15, vcc
	v_mul_hi_u32 v21, s51, v3
	v_mul_lo_u32 v3, s51, v3
	v_add_co_u32_e32 v3, vcc, v19, v3
	v_mul_hi_u32 v20, s51, v9
	v_addc_co_u32_e32 v3, vcc, v15, v21, vcc
	v_addc_co_u32_e32 v15, vcc, 0, v20, vcc
	v_mul_lo_u32 v9, s51, v9
	v_add_co_u32_e32 v3, vcc, v3, v9
	v_addc_co_u32_e32 v9, vcc, 0, v15, vcc
	v_mul_lo_u32 v9, s46, v9
	v_mul_hi_u32 v15, s46, v3
	v_add_u32_e32 v9, v15, v9
	v_mul_lo_u32 v15, s47, v3
	v_add_u32_e32 v9, v9, v15
	v_mul_lo_u32 v19, s46, v3
	v_sub_u32_e32 v15, s51, v9
	v_mov_b32_e32 v20, s47
	v_sub_co_u32_e32 v19, vcc, s50, v19
	v_subb_co_u32_e64 v15, s[8:9], v15, v20, vcc
	v_subrev_co_u32_e64 v20, s[8:9], s46, v19
	v_subbrev_co_u32_e64 v15, s[8:9], 0, v15, s[8:9]
	v_cmp_le_u32_e64 s[8:9], s47, v15
	v_cndmask_b32_e64 v21, 0, -1, s[8:9]
	v_cmp_le_u32_e64 s[8:9], s46, v20
	v_cndmask_b32_e64 v20, 0, -1, s[8:9]
	v_cmp_eq_u32_e64 s[8:9], s47, v15
	v_cndmask_b32_e64 v15, v21, v20, s[8:9]
	v_add_co_u32_e64 v20, s[8:9], 1, v3
	v_add_co_u32_e64 v21, s[8:9], 2, v3
	v_cmp_ne_u32_e64 s[8:9], 0, v15
	v_cndmask_b32_e64 v15, v20, v21, s[8:9]
	v_mov_b32_e32 v20, s51
	v_subb_co_u32_e32 v9, vcc, v20, v9, vcc
	v_cmp_le_u32_e32 vcc, s47, v9
	v_cndmask_b32_e64 v20, 0, -1, vcc
	v_cmp_le_u32_e32 vcc, s46, v19
	v_cndmask_b32_e64 v19, 0, -1, vcc
	v_cmp_eq_u32_e32 vcc, s47, v9
	v_cndmask_b32_e32 v9, v20, v19, vcc
	v_cmp_ne_u32_e32 vcc, 0, v9
	v_cndmask_b32_e32 v3, v3, v15, vcc
	s_xor_b64 s[8:9], s[48:49], s[44:45]
	v_xor_b32_e32 v3, s8, v3
	v_subrev_co_u32_e32 v20, vcc, s8, v3
	s_cbranch_execnz .LBB8_51
.LBB8_50:                               ;   in Loop: Header=BB8_42 Depth=3
	v_rcp_iflag_f32_e32 v1, v1
	s_sub_i32 s8, 0, s18
	v_mul_f32_e32 v1, 0x4f7ffffe, v1
	v_cvt_u32_f32_e32 v1, v1
	v_mul_lo_u32 v3, s8, v1
	v_mul_hi_u32 v3, v1, v3
	v_add_u32_e32 v1, v1, v3
	v_mul_hi_u32 v1, s40, v1
	v_mul_lo_u32 v9, v1, s18
	v_sub_u32_e32 v9, s40, v9
	v_add_u32_e32 v3, 1, v1
	v_subrev_u32_e32 v15, s18, v9
	v_cmp_le_u32_e32 vcc, s18, v9
	v_cndmask_b32_e32 v9, v9, v15, vcc
	v_cndmask_b32_e32 v1, v1, v3, vcc
	v_add_u32_e32 v3, 1, v1
	v_cmp_le_u32_e32 vcc, s18, v9
	v_cndmask_b32_e32 v20, v1, v3, vcc
.LBB8_51:                               ;   in Loop: Header=BB8_42 Depth=3
	s_and_saveexec_b64 s[40:41], s[4:5]
	s_cbranch_execz .LBB8_41
; %bb.52:                               ;   in Loop: Header=BB8_42 Depth=3
	s_mul_i32 s8, s42, s10
	v_add_u32_e32 v1, s8, v20
	v_sub_u32_e32 v1, v18, v1
	v_add_u32_e32 v9, 1, v1
	s_mov_b64 s[42:43], 0
	v_mov_b32_e32 v18, v14
	v_mov_b32_e32 v20, v4
	s_branch .LBB8_54
.LBB8_53:                               ;   in Loop: Header=BB8_54 Depth=4
	s_or_b64 exec, exec, s[44:45]
	v_add_u32_e32 v20, 1, v20
	v_cmp_ge_i32_e32 vcc, v20, v44
	s_or_b64 s[42:43], vcc, s[42:43]
	v_add_u32_e32 v18, s17, v18
	s_andn2_b64 exec, exec, s[42:43]
	s_cbranch_execz .LBB8_41
.LBB8_54:                               ;   Parent Loop BB8_12 Depth=1
                                        ;     Parent Loop BB8_27 Depth=2
                                        ;       Parent Loop BB8_42 Depth=3
                                        ; =>      This Loop Header: Depth=4
                                        ;           Child Loop BB8_69 Depth 5
	s_and_saveexec_b64 s[44:45], s[6:7]
	s_cbranch_execz .LBB8_53
; %bb.55:                               ;   in Loop: Header=BB8_54 Depth=4
	v_ashrrev_i32_e32 v3, 31, v20
	v_add_co_u32_e32 v1, vcc, 1, v20
	v_addc_co_u32_e32 v15, vcc, 0, v3, vcc
	v_mul_lo_u32 v19, v1, s12
	v_mul_lo_u32 v15, v15, s21
	v_mad_u64_u32 v[22:23], s[8:9], v1, s21, -1
	v_add3_u32 v23, v15, v23, v19
	v_or_b32_e32 v1, s58, v23
	v_cmp_ne_u64_e32 vcc, 0, v[0:1]
                                        ; implicit-def: $vgpr26_vgpr27
	s_and_saveexec_b64 s[8:9], vcc
	s_xor_b64 s[46:47], exec, s[8:9]
	s_cbranch_execz .LBB8_57
; %bb.56:                               ;   in Loop: Header=BB8_54 Depth=4
	s_add_u32 s8, s59, s58
	s_mov_b32 s48, s58
	s_mov_b32 s49, s58
	s_addc_u32 s9, s58, s58
	s_xor_b64 s[50:51], s[8:9], s[48:49]
	v_cvt_f32_u32_e32 v1, s50
	v_cvt_f32_u32_e32 v15, s51
	s_sub_u32 s8, 0, s50
	s_subb_u32 s9, 0, s51
	v_mac_f32_e32 v1, 0x4f800000, v15
	v_rcp_f32_e32 v1, v1
	v_mul_f32_e32 v1, 0x5f7ffffc, v1
	v_mul_f32_e32 v15, 0x2f800000, v1
	v_trunc_f32_e32 v15, v15
	v_mac_f32_e32 v1, 0xcf800000, v15
	v_cvt_u32_f32_e32 v15, v15
	v_cvt_u32_f32_e32 v1, v1
	v_mul_lo_u32 v19, s8, v15
	v_mul_hi_u32 v24, s8, v1
	v_mul_lo_u32 v21, s9, v1
	v_add_u32_e32 v19, v24, v19
	v_mul_lo_u32 v25, s8, v1
	v_add_u32_e32 v19, v19, v21
	v_mul_lo_u32 v24, v1, v19
	v_mul_hi_u32 v26, v1, v25
	v_mul_hi_u32 v21, v1, v19
	v_add_co_u32_e32 v24, vcc, v26, v24
	v_addc_co_u32_e32 v21, vcc, 0, v21, vcc
	v_mul_hi_u32 v27, v15, v25
	v_mul_lo_u32 v25, v15, v25
	v_add_co_u32_e32 v24, vcc, v24, v25
	v_mul_hi_u32 v26, v15, v19
	v_addc_co_u32_e32 v21, vcc, v21, v27, vcc
	v_addc_co_u32_e32 v24, vcc, 0, v26, vcc
	v_mul_lo_u32 v19, v15, v19
	v_add_co_u32_e32 v19, vcc, v21, v19
	v_addc_co_u32_e32 v21, vcc, 0, v24, vcc
	v_add_co_u32_e32 v1, vcc, v1, v19
	v_addc_co_u32_e32 v15, vcc, v15, v21, vcc
	v_mul_lo_u32 v19, s8, v15
	v_mul_hi_u32 v21, s8, v1
	v_add_u32_e32 v19, v21, v19
	v_mul_lo_u32 v21, s9, v1
	v_add_u32_e32 v19, v19, v21
	v_mul_lo_u32 v24, s8, v1
	v_mul_hi_u32 v25, v15, v24
	v_mul_lo_u32 v26, v15, v24
	v_mul_lo_u32 v28, v1, v19
	v_mul_hi_u32 v24, v1, v24
	v_mul_hi_u32 v27, v1, v19
	v_add_co_u32_e32 v24, vcc, v24, v28
	v_addc_co_u32_e32 v27, vcc, 0, v27, vcc
	v_add_co_u32_e32 v24, vcc, v24, v26
	v_mul_hi_u32 v21, v15, v19
	v_addc_co_u32_e32 v24, vcc, v27, v25, vcc
	v_addc_co_u32_e32 v21, vcc, 0, v21, vcc
	v_mul_lo_u32 v19, v15, v19
	v_add_co_u32_e32 v19, vcc, v24, v19
	v_addc_co_u32_e32 v21, vcc, 0, v21, vcc
	v_add_co_u32_e32 v1, vcc, v1, v19
	v_addc_co_u32_e32 v15, vcc, v15, v21, vcc
	v_ashrrev_i32_e32 v19, 31, v23
	v_add_co_u32_e32 v21, vcc, v22, v19
	v_addc_co_u32_e32 v22, vcc, v23, v19, vcc
	v_xor_b32_e32 v21, v21, v19
	v_xor_b32_e32 v26, v22, v19
	v_mad_u64_u32 v[22:23], s[8:9], v21, v15, 0
	v_mul_hi_u32 v24, v21, v1
	v_add_co_u32_e32 v27, vcc, v24, v22
	v_addc_co_u32_e32 v28, vcc, 0, v23, vcc
	v_mad_u64_u32 v[24:25], s[8:9], v26, v1, 0
	v_add_co_u32_e32 v1, vcc, v27, v24
	v_mad_u64_u32 v[22:23], s[8:9], v26, v15, 0
	v_addc_co_u32_e32 v1, vcc, v28, v25, vcc
	v_addc_co_u32_e32 v15, vcc, 0, v23, vcc
	v_add_co_u32_e32 v1, vcc, v1, v22
	v_addc_co_u32_e32 v15, vcc, 0, v15, vcc
	v_mul_lo_u32 v24, s51, v1
	v_mul_lo_u32 v15, s50, v15
	v_mad_u64_u32 v[22:23], s[8:9], s50, v1, 0
	v_add3_u32 v15, v23, v15, v24
	v_sub_u32_e32 v23, v26, v15
	v_mov_b32_e32 v24, s51
	v_sub_co_u32_e32 v21, vcc, v21, v22
	v_subb_co_u32_e64 v22, s[8:9], v23, v24, vcc
	v_subrev_co_u32_e64 v23, s[8:9], s50, v21
	v_subbrev_co_u32_e64 v22, s[8:9], 0, v22, s[8:9]
	v_cmp_le_u32_e64 s[8:9], s51, v22
	v_subb_co_u32_e32 v15, vcc, v26, v15, vcc
	v_cndmask_b32_e64 v24, 0, -1, s[8:9]
	v_cmp_le_u32_e64 s[8:9], s50, v23
	v_cmp_le_u32_e32 vcc, s51, v15
	v_cndmask_b32_e64 v23, 0, -1, s[8:9]
	v_cmp_eq_u32_e64 s[8:9], s51, v22
	v_cndmask_b32_e64 v25, 0, -1, vcc
	v_cmp_le_u32_e32 vcc, s50, v21
	v_cndmask_b32_e64 v22, v24, v23, s[8:9]
	v_cndmask_b32_e64 v21, 0, -1, vcc
	v_cmp_eq_u32_e32 vcc, s51, v15
	v_add_co_u32_e64 v23, s[8:9], 2, v1
	v_add_co_u32_e64 v24, s[8:9], 1, v1
	v_cndmask_b32_e32 v15, v25, v21, vcc
	v_cmp_ne_u32_e32 vcc, 0, v22
	v_cndmask_b32_e32 v21, v24, v23, vcc
	v_cmp_ne_u32_e32 vcc, 0, v15
	v_cndmask_b32_e32 v1, v1, v21, vcc
	v_xor_b32_e32 v15, s48, v19
	v_xor_b32_e32 v1, v1, v15
	v_sub_co_u32_e32 v26, vcc, v1, v15
                                        ; implicit-def: $vgpr22_vgpr23
.LBB8_57:                               ;   in Loop: Header=BB8_54 Depth=4
	s_or_saveexec_b64 s[8:9], s[46:47]
	v_cvt_f32_u32_e32 v15, s59
	s_xor_b64 exec, exec, s[8:9]
	s_cbranch_execz .LBB8_59
; %bb.58:                               ;   in Loop: Header=BB8_54 Depth=4
	v_rcp_iflag_f32_e32 v1, v15
	s_sub_i32 s29, 0, s59
	v_mul_f32_e32 v1, 0x4f7ffffe, v1
	v_cvt_u32_f32_e32 v1, v1
	v_mul_lo_u32 v19, s29, v1
	v_mul_hi_u32 v19, v1, v19
	v_add_u32_e32 v1, v1, v19
	v_mul_hi_u32 v1, v22, v1
	v_mul_lo_u32 v19, v1, s59
	v_sub_u32_e32 v19, v22, v19
	v_add_u32_e32 v21, 1, v1
	v_subrev_u32_e32 v22, s59, v19
	v_cmp_le_u32_e32 vcc, s59, v19
	v_cndmask_b32_e32 v19, v19, v22, vcc
	v_cndmask_b32_e32 v1, v1, v21, vcc
	v_add_u32_e32 v21, 1, v1
	v_cmp_le_u32_e32 vcc, s59, v19
	v_cndmask_b32_e32 v26, v1, v21, vcc
.LBB8_59:                               ;   in Loop: Header=BB8_54 Depth=4
	s_or_b64 exec, exec, s[8:9]
	v_or_b32_e32 v1, s58, v3
	v_cmp_ne_u64_e32 vcc, 0, v[0:1]
                                        ; implicit-def: $vgpr28_vgpr29
	s_and_saveexec_b64 s[8:9], vcc
	s_xor_b64 s[46:47], exec, s[8:9]
	s_cbranch_execz .LBB8_61
; %bb.60:                               ;   in Loop: Header=BB8_54 Depth=4
	s_add_u32 s8, s59, s58
	s_mov_b32 s48, s58
	s_mov_b32 s49, s58
	s_addc_u32 s9, s58, s58
	s_xor_b64 s[50:51], s[8:9], s[48:49]
	v_cvt_f32_u32_e32 v1, s50
	v_cvt_f32_u32_e32 v19, s51
	s_sub_u32 s8, 0, s50
	s_subb_u32 s9, 0, s51
	v_mac_f32_e32 v1, 0x4f800000, v19
	v_rcp_f32_e32 v1, v1
	v_mul_f32_e32 v1, 0x5f7ffffc, v1
	v_mul_f32_e32 v19, 0x2f800000, v1
	v_trunc_f32_e32 v19, v19
	v_mac_f32_e32 v1, 0xcf800000, v19
	v_cvt_u32_f32_e32 v19, v19
	v_cvt_u32_f32_e32 v1, v1
	v_mul_lo_u32 v21, s8, v19
	v_mul_hi_u32 v23, s8, v1
	v_mul_lo_u32 v22, s9, v1
	v_add_u32_e32 v21, v23, v21
	v_mul_lo_u32 v24, s8, v1
	v_add_u32_e32 v21, v21, v22
	v_mul_lo_u32 v23, v1, v21
	v_mul_hi_u32 v25, v1, v24
	v_mul_hi_u32 v22, v1, v21
	v_add_co_u32_e32 v23, vcc, v25, v23
	v_addc_co_u32_e32 v22, vcc, 0, v22, vcc
	v_mul_hi_u32 v27, v19, v24
	v_mul_lo_u32 v24, v19, v24
	v_add_co_u32_e32 v23, vcc, v23, v24
	v_mul_hi_u32 v25, v19, v21
	v_addc_co_u32_e32 v22, vcc, v22, v27, vcc
	v_addc_co_u32_e32 v23, vcc, 0, v25, vcc
	v_mul_lo_u32 v21, v19, v21
	v_add_co_u32_e32 v21, vcc, v22, v21
	v_addc_co_u32_e32 v22, vcc, 0, v23, vcc
	v_add_co_u32_e32 v1, vcc, v1, v21
	v_addc_co_u32_e32 v19, vcc, v19, v22, vcc
	v_mul_lo_u32 v21, s8, v19
	v_mul_hi_u32 v22, s8, v1
	v_add_u32_e32 v21, v22, v21
	v_mul_lo_u32 v22, s9, v1
	v_add_u32_e32 v21, v21, v22
	v_mul_lo_u32 v23, s8, v1
	v_mul_hi_u32 v24, v19, v23
	v_mul_lo_u32 v25, v19, v23
	v_mul_lo_u32 v28, v1, v21
	v_mul_hi_u32 v23, v1, v23
	v_mul_hi_u32 v27, v1, v21
	v_add_co_u32_e32 v23, vcc, v23, v28
	v_addc_co_u32_e32 v27, vcc, 0, v27, vcc
	v_add_co_u32_e32 v23, vcc, v23, v25
	v_mul_hi_u32 v22, v19, v21
	v_addc_co_u32_e32 v23, vcc, v27, v24, vcc
	v_addc_co_u32_e32 v22, vcc, 0, v22, vcc
	v_mul_lo_u32 v21, v19, v21
	v_add_co_u32_e32 v21, vcc, v23, v21
	v_addc_co_u32_e32 v22, vcc, 0, v22, vcc
	v_add_co_u32_e32 v1, vcc, v1, v21
	v_addc_co_u32_e32 v19, vcc, v19, v22, vcc
	v_ashrrev_i32_e32 v21, 31, v3
	v_add_co_u32_e32 v22, vcc, v20, v21
	v_addc_co_u32_e32 v23, vcc, v3, v21, vcc
	v_xor_b32_e32 v28, v22, v21
	v_xor_b32_e32 v27, v23, v21
	v_mad_u64_u32 v[22:23], s[8:9], v28, v19, 0
	v_mul_hi_u32 v24, v28, v1
	v_add_co_u32_e32 v29, vcc, v24, v22
	v_addc_co_u32_e32 v30, vcc, 0, v23, vcc
	v_mad_u64_u32 v[24:25], s[8:9], v27, v1, 0
	v_add_co_u32_e32 v1, vcc, v29, v24
	v_mad_u64_u32 v[22:23], s[8:9], v27, v19, 0
	v_addc_co_u32_e32 v1, vcc, v30, v25, vcc
	v_addc_co_u32_e32 v19, vcc, 0, v23, vcc
	v_add_co_u32_e32 v1, vcc, v1, v22
	v_addc_co_u32_e32 v19, vcc, 0, v19, vcc
	v_mul_lo_u32 v24, s51, v1
	v_mul_lo_u32 v25, s50, v19
	v_mad_u64_u32 v[22:23], s[8:9], s50, v1, 0
	v_add3_u32 v23, v23, v25, v24
	v_sub_u32_e32 v24, v27, v23
	v_mov_b32_e32 v25, s51
	v_sub_co_u32_e32 v22, vcc, v28, v22
	v_subb_co_u32_e64 v24, s[8:9], v24, v25, vcc
	v_subrev_co_u32_e64 v25, s[8:9], s50, v22
	v_subbrev_co_u32_e64 v24, s[8:9], 0, v24, s[8:9]
	v_cmp_le_u32_e64 s[8:9], s51, v24
	v_cndmask_b32_e64 v28, 0, -1, s[8:9]
	v_cmp_le_u32_e64 s[8:9], s50, v25
	v_cndmask_b32_e64 v25, 0, -1, s[8:9]
	v_cmp_eq_u32_e64 s[8:9], s51, v24
	v_cndmask_b32_e64 v24, v28, v25, s[8:9]
	v_add_co_u32_e64 v25, s[8:9], 2, v1
	v_subb_co_u32_e32 v23, vcc, v27, v23, vcc
	v_addc_co_u32_e64 v28, s[8:9], 0, v19, s[8:9]
	v_cmp_le_u32_e32 vcc, s51, v23
	v_add_co_u32_e64 v29, s[8:9], 1, v1
	v_cndmask_b32_e64 v27, 0, -1, vcc
	v_cmp_le_u32_e32 vcc, s50, v22
	v_addc_co_u32_e64 v30, s[8:9], 0, v19, s[8:9]
	v_cndmask_b32_e64 v22, 0, -1, vcc
	v_cmp_eq_u32_e32 vcc, s51, v23
	v_cmp_ne_u32_e64 s[8:9], 0, v24
	v_cndmask_b32_e32 v22, v27, v22, vcc
	v_cmp_ne_u32_e32 vcc, 0, v22
	v_cndmask_b32_e64 v22, v29, v25, s[8:9]
	v_cndmask_b32_e64 v24, v30, v28, s[8:9]
	v_cndmask_b32_e32 v1, v1, v22, vcc
	v_xor_b32_e32 v22, s49, v21
	v_xor_b32_e32 v21, s48, v21
	v_cndmask_b32_e32 v19, v19, v24, vcc
	v_xor_b32_e32 v1, v1, v21
	v_xor_b32_e32 v19, v19, v22
	v_sub_co_u32_e32 v28, vcc, v1, v21
	v_subb_co_u32_e32 v29, vcc, v19, v22, vcc
.LBB8_61:                               ;   in Loop: Header=BB8_54 Depth=4
	s_andn2_saveexec_b64 s[8:9], s[46:47]
	s_cbranch_execz .LBB8_63
; %bb.62:                               ;   in Loop: Header=BB8_54 Depth=4
	v_rcp_iflag_f32_e32 v1, v15
	s_sub_i32 s29, 0, s59
	v_mov_b32_e32 v29, v0
	v_mul_f32_e32 v1, 0x4f7ffffe, v1
	v_cvt_u32_f32_e32 v1, v1
	v_mul_lo_u32 v19, s29, v1
	v_mul_hi_u32 v19, v1, v19
	v_add_u32_e32 v1, v1, v19
	v_mul_hi_u32 v1, v20, v1
	v_mul_lo_u32 v19, v1, s59
	v_sub_u32_e32 v19, v20, v19
	v_add_u32_e32 v21, 1, v1
	v_subrev_u32_e32 v22, s59, v19
	v_cmp_le_u32_e32 vcc, s59, v19
	v_cndmask_b32_e32 v19, v19, v22, vcc
	v_cndmask_b32_e32 v1, v1, v21, vcc
	v_add_u32_e32 v21, 1, v1
	v_cmp_le_u32_e32 vcc, s59, v19
	v_cndmask_b32_e32 v28, v1, v21, vcc
.LBB8_63:                               ;   in Loop: Header=BB8_54 Depth=4
	s_or_b64 exec, exec, s[8:9]
	v_mul_lo_u32 v1, v29, s59
	v_mul_lo_u32 v19, v28, s58
	v_mad_u64_u32 v[22:23], s[8:9], v28, s59, 0
	v_add3_u32 v1, v23, v19, v1
	v_sub_co_u32_e32 v19, vcc, v20, v22
	v_subb_co_u32_e32 v1, vcc, v3, v1, vcc
	v_mul_lo_u32 v1, v1, s21
	v_mul_lo_u32 v3, v19, s12
	v_mad_u64_u32 v[22:23], s[8:9], v19, s21, 0
	v_add3_u32 v23, v23, v3, v1
	v_or_b32_e32 v1, s58, v23
	v_cmp_ne_u64_e32 vcc, 0, v[0:1]
                                        ; implicit-def: $vgpr30_vgpr31
	s_and_saveexec_b64 s[8:9], vcc
	s_xor_b64 s[46:47], exec, s[8:9]
	s_cbranch_execz .LBB8_65
; %bb.64:                               ;   in Loop: Header=BB8_54 Depth=4
	s_add_u32 s8, s59, s58
	s_mov_b32 s48, s58
	s_mov_b32 s49, s58
	s_addc_u32 s9, s58, s58
	s_xor_b64 s[50:51], s[8:9], s[48:49]
	v_cvt_f32_u32_e32 v1, s50
	v_cvt_f32_u32_e32 v3, s51
	s_sub_u32 s8, 0, s50
	s_subb_u32 s9, 0, s51
	v_mac_f32_e32 v1, 0x4f800000, v3
	v_rcp_f32_e32 v1, v1
	v_mul_f32_e32 v1, 0x5f7ffffc, v1
	v_mul_f32_e32 v3, 0x2f800000, v1
	v_trunc_f32_e32 v3, v3
	v_mac_f32_e32 v1, 0xcf800000, v3
	v_cvt_u32_f32_e32 v3, v3
	v_cvt_u32_f32_e32 v1, v1
	v_mul_lo_u32 v15, s8, v3
	v_mul_hi_u32 v21, s8, v1
	v_mul_lo_u32 v19, s9, v1
	v_add_u32_e32 v15, v21, v15
	v_mul_lo_u32 v24, s8, v1
	v_add_u32_e32 v15, v15, v19
	v_mul_lo_u32 v21, v1, v15
	v_mul_hi_u32 v25, v1, v24
	v_mul_hi_u32 v19, v1, v15
	v_add_co_u32_e32 v21, vcc, v25, v21
	v_addc_co_u32_e32 v19, vcc, 0, v19, vcc
	v_mul_hi_u32 v27, v3, v24
	v_mul_lo_u32 v24, v3, v24
	v_add_co_u32_e32 v21, vcc, v21, v24
	v_mul_hi_u32 v25, v3, v15
	v_addc_co_u32_e32 v19, vcc, v19, v27, vcc
	v_addc_co_u32_e32 v21, vcc, 0, v25, vcc
	v_mul_lo_u32 v15, v3, v15
	v_add_co_u32_e32 v15, vcc, v19, v15
	v_addc_co_u32_e32 v19, vcc, 0, v21, vcc
	v_add_co_u32_e32 v1, vcc, v1, v15
	v_addc_co_u32_e32 v3, vcc, v3, v19, vcc
	v_mul_lo_u32 v15, s8, v3
	v_mul_hi_u32 v19, s8, v1
	v_add_u32_e32 v15, v19, v15
	v_mul_lo_u32 v19, s9, v1
	v_add_u32_e32 v15, v15, v19
	v_mul_lo_u32 v21, s8, v1
	v_mul_hi_u32 v24, v3, v21
	v_mul_lo_u32 v25, v3, v21
	v_mul_lo_u32 v29, v1, v15
	v_mul_hi_u32 v21, v1, v21
	v_mul_hi_u32 v27, v1, v15
	v_add_co_u32_e32 v21, vcc, v21, v29
	v_addc_co_u32_e32 v27, vcc, 0, v27, vcc
	v_add_co_u32_e32 v21, vcc, v21, v25
	v_mul_hi_u32 v19, v3, v15
	v_addc_co_u32_e32 v21, vcc, v27, v24, vcc
	v_addc_co_u32_e32 v19, vcc, 0, v19, vcc
	v_mul_lo_u32 v15, v3, v15
	v_add_co_u32_e32 v15, vcc, v21, v15
	v_addc_co_u32_e32 v19, vcc, 0, v19, vcc
	v_add_co_u32_e32 v1, vcc, v1, v15
	v_addc_co_u32_e32 v3, vcc, v3, v19, vcc
	v_ashrrev_i32_e32 v15, 31, v23
	v_add_co_u32_e32 v19, vcc, v22, v15
	v_xor_b32_e32 v19, v19, v15
	v_addc_co_u32_e32 v21, vcc, v23, v15, vcc
	v_mad_u64_u32 v[22:23], s[8:9], v19, v3, 0
	v_mul_hi_u32 v24, v19, v1
	v_xor_b32_e32 v21, v21, v15
	v_add_co_u32_e32 v27, vcc, v24, v22
	v_addc_co_u32_e32 v29, vcc, 0, v23, vcc
	v_mad_u64_u32 v[24:25], s[8:9], v21, v1, 0
	v_add_co_u32_e32 v1, vcc, v27, v24
	v_mad_u64_u32 v[22:23], s[8:9], v21, v3, 0
	v_addc_co_u32_e32 v1, vcc, v29, v25, vcc
	v_addc_co_u32_e32 v3, vcc, 0, v23, vcc
	v_add_co_u32_e32 v1, vcc, v1, v22
	v_addc_co_u32_e32 v3, vcc, 0, v3, vcc
	v_mul_lo_u32 v24, s51, v1
	v_mul_lo_u32 v3, s50, v3
	v_mad_u64_u32 v[22:23], s[8:9], s50, v1, 0
	v_add3_u32 v3, v23, v3, v24
	v_sub_u32_e32 v23, v21, v3
	v_mov_b32_e32 v24, s51
	v_sub_co_u32_e32 v19, vcc, v19, v22
	v_subb_co_u32_e64 v22, s[8:9], v23, v24, vcc
	v_subrev_co_u32_e64 v23, s[8:9], s50, v19
	v_subbrev_co_u32_e64 v22, s[8:9], 0, v22, s[8:9]
	v_cmp_le_u32_e64 s[8:9], s51, v22
	v_subb_co_u32_e32 v3, vcc, v21, v3, vcc
	v_cndmask_b32_e64 v24, 0, -1, s[8:9]
	v_cmp_le_u32_e64 s[8:9], s50, v23
	v_cmp_le_u32_e32 vcc, s51, v3
	v_cndmask_b32_e64 v23, 0, -1, s[8:9]
	v_cmp_eq_u32_e64 s[8:9], s51, v22
	v_cndmask_b32_e64 v21, 0, -1, vcc
	v_cmp_le_u32_e32 vcc, s50, v19
	v_cndmask_b32_e64 v22, v24, v23, s[8:9]
	v_cndmask_b32_e64 v19, 0, -1, vcc
	v_cmp_eq_u32_e32 vcc, s51, v3
	v_add_co_u32_e64 v23, s[8:9], 2, v1
	v_add_co_u32_e64 v24, s[8:9], 1, v1
	v_cndmask_b32_e32 v3, v21, v19, vcc
	v_cmp_ne_u32_e32 vcc, 0, v22
	v_cndmask_b32_e32 v19, v24, v23, vcc
	v_cmp_ne_u32_e32 vcc, 0, v3
	v_cndmask_b32_e32 v1, v1, v19, vcc
	v_xor_b32_e32 v3, s48, v15
	v_xor_b32_e32 v1, v1, v3
	v_sub_co_u32_e32 v30, vcc, v1, v3
                                        ; implicit-def: $vgpr15
                                        ; implicit-def: $vgpr22_vgpr23
.LBB8_65:                               ;   in Loop: Header=BB8_54 Depth=4
	s_andn2_saveexec_b64 s[8:9], s[46:47]
	s_cbranch_execz .LBB8_67
; %bb.66:                               ;   in Loop: Header=BB8_54 Depth=4
	v_rcp_iflag_f32_e32 v1, v15
	s_sub_i32 s29, 0, s59
	v_mul_f32_e32 v1, 0x4f7ffffe, v1
	v_cvt_u32_f32_e32 v1, v1
	v_mul_lo_u32 v3, s29, v1
	v_mul_hi_u32 v3, v1, v3
	v_add_u32_e32 v1, v1, v3
	v_mul_hi_u32 v1, v22, v1
	v_mul_lo_u32 v3, v1, s59
	v_sub_u32_e32 v3, v22, v3
	v_add_u32_e32 v15, 1, v1
	v_subrev_u32_e32 v19, s59, v3
	v_cmp_le_u32_e32 vcc, s59, v3
	v_cndmask_b32_e32 v3, v3, v19, vcc
	v_cndmask_b32_e32 v1, v1, v15, vcc
	v_add_u32_e32 v15, 1, v1
	v_cmp_le_u32_e32 vcc, s59, v3
	v_cndmask_b32_e32 v30, v1, v15, vcc
.LBB8_67:                               ;   in Loop: Header=BB8_54 Depth=4
	s_or_b64 exec, exec, s[8:9]
	global_load_dwordx2 v[22:23], v[10:11], off
	v_ashrrev_i32_e32 v19, 31, v18
	v_lshlrev_b64 v[24:25], 3, v[18:19]
	v_mov_b32_e32 v1, s37
	v_add_co_u32_e32 v24, vcc, s36, v24
	v_mad_u64_u32 v[28:29], s[8:9], v28, s21, v[30:31]
	v_addc_co_u32_e32 v25, vcc, v1, v25, vcc
	v_sub_u32_e32 v1, v26, v28
	v_mul_lo_u32 v1, v9, v1
	v_add_u32_e32 v26, v1, v9
	s_mov_b64 s[46:47], 0
	v_pk_mov_b32 v[28:29], v[16:17], v[16:17] op_sel:[0,1]
	v_pk_mov_b32 v[30:31], v[12:13], v[12:13] op_sel:[0,1]
	s_branch .LBB8_69
.LBB8_68:                               ;   in Loop: Header=BB8_69 Depth=5
	s_or_b64 exec, exec, s[8:9]
	global_load_dwordx2 v[36:37], v[24:25], off
	v_mad_u64_u32 v[34:35], s[8:9], v34, s54, v[38:39]
	v_sub_u32_e32 v3, v32, v34
	v_mad_u64_u32 v[32:33], s[8:9], v26, v3, v[26:27]
	v_cvt_f64_i32_e32 v[32:33], v32
	v_add_co_u32_e32 v30, vcc, 1, v30
	v_addc_co_u32_e32 v31, vcc, 0, v31, vcc
	v_add_co_u32_e32 v24, vcc, 8, v24
	v_addc_co_u32_e32 v25, vcc, 0, v25, vcc
	v_cmp_ge_i32_e32 vcc, v30, v7
	s_or_b64 s[46:47], vcc, s[46:47]
	v_mov_b32_e32 v1, s33
	s_waitcnt vmcnt(0)
	v_div_scale_f64 v[34:35], s[8:9], v[32:33], v[32:33], v[36:37]
	v_rcp_f64_e32 v[38:39], v[34:35]
	v_div_scale_f64 v[46:47], vcc, v[36:37], v[32:33], v[36:37]
	v_fma_f64 v[48:49], -v[34:35], v[38:39], 1.0
	v_fmac_f64_e32 v[38:39], v[38:39], v[48:49]
	v_fma_f64 v[48:49], -v[34:35], v[38:39], 1.0
	v_fmac_f64_e32 v[38:39], v[38:39], v[48:49]
	v_mul_f64 v[48:49], v[46:47], v[38:39]
	v_fma_f64 v[34:35], -v[34:35], v[48:49], v[46:47]
	v_div_fmas_f64 v[34:35], v[34:35], v[38:39], v[48:49]
	v_div_fixup_f64 v[32:33], v[34:35], v[32:33], v[36:37]
	v_add_co_u32_e32 v28, vcc, s54, v28
	v_add_f64 v[22:23], v[22:23], v[32:33]
	v_addc_co_u32_e32 v29, vcc, v29, v1, vcc
	global_store_dwordx2 v[10:11], v[22:23], off
	s_andn2_b64 exec, exec, s[46:47]
	s_cbranch_execz .LBB8_53
.LBB8_69:                               ;   Parent Loop BB8_12 Depth=1
                                        ;     Parent Loop BB8_27 Depth=2
                                        ;       Parent Loop BB8_42 Depth=3
                                        ;         Parent Loop BB8_54 Depth=4
                                        ; =>        This Inner Loop Header: Depth=5
	v_or_b32_e32 v1, s60, v29
	v_cmp_ne_u64_e32 vcc, 0, v[0:1]
                                        ; implicit-def: $vgpr32_vgpr33
	s_and_saveexec_b64 s[8:9], vcc
	s_xor_b64 s[48:49], exec, s[8:9]
	s_cbranch_execz .LBB8_71
; %bb.70:                               ;   in Loop: Header=BB8_69 Depth=5
	s_add_u32 s8, s61, s60
	s_mov_b32 s50, s60
	s_mov_b32 s51, s60
	s_addc_u32 s9, s60, s60
	s_xor_b64 s[52:53], s[8:9], s[50:51]
	v_cvt_f32_u32_e32 v1, s52
	v_cvt_f32_u32_e32 v3, s53
	s_sub_u32 s8, 0, s52
	s_subb_u32 s9, 0, s53
	v_mac_f32_e32 v1, 0x4f800000, v3
	v_rcp_f32_e32 v1, v1
	v_mul_f32_e32 v1, 0x5f7ffffc, v1
	v_mul_f32_e32 v3, 0x2f800000, v1
	v_trunc_f32_e32 v3, v3
	v_mac_f32_e32 v1, 0xcf800000, v3
	v_cvt_u32_f32_e32 v3, v3
	v_cvt_u32_f32_e32 v1, v1
	v_mul_lo_u32 v15, s8, v3
	v_mul_hi_u32 v21, s8, v1
	v_mul_lo_u32 v19, s9, v1
	v_add_u32_e32 v15, v21, v15
	v_mul_lo_u32 v27, s8, v1
	v_add_u32_e32 v15, v15, v19
	v_mul_lo_u32 v21, v1, v15
	v_mul_hi_u32 v32, v1, v27
	v_mul_hi_u32 v19, v1, v15
	v_add_co_u32_e32 v21, vcc, v32, v21
	v_addc_co_u32_e32 v19, vcc, 0, v19, vcc
	v_mul_hi_u32 v33, v3, v27
	v_mul_lo_u32 v27, v3, v27
	v_add_co_u32_e32 v21, vcc, v21, v27
	v_mul_hi_u32 v32, v3, v15
	v_addc_co_u32_e32 v19, vcc, v19, v33, vcc
	v_addc_co_u32_e32 v21, vcc, 0, v32, vcc
	v_mul_lo_u32 v15, v3, v15
	v_add_co_u32_e32 v15, vcc, v19, v15
	v_addc_co_u32_e32 v19, vcc, 0, v21, vcc
	v_add_co_u32_e32 v1, vcc, v1, v15
	v_addc_co_u32_e32 v3, vcc, v3, v19, vcc
	v_mul_lo_u32 v15, s8, v3
	v_mul_hi_u32 v19, s8, v1
	v_add_u32_e32 v15, v19, v15
	v_mul_lo_u32 v19, s9, v1
	v_add_u32_e32 v15, v15, v19
	v_mul_lo_u32 v21, s8, v1
	v_mul_hi_u32 v27, v3, v21
	v_mul_lo_u32 v32, v3, v21
	v_mul_lo_u32 v34, v1, v15
	v_mul_hi_u32 v21, v1, v21
	v_mul_hi_u32 v33, v1, v15
	v_add_co_u32_e32 v21, vcc, v21, v34
	v_addc_co_u32_e32 v33, vcc, 0, v33, vcc
	v_add_co_u32_e32 v21, vcc, v21, v32
	v_mul_hi_u32 v19, v3, v15
	v_addc_co_u32_e32 v21, vcc, v33, v27, vcc
	v_addc_co_u32_e32 v19, vcc, 0, v19, vcc
	v_mul_lo_u32 v15, v3, v15
	v_add_co_u32_e32 v15, vcc, v21, v15
	v_addc_co_u32_e32 v19, vcc, 0, v19, vcc
	v_add_co_u32_e32 v1, vcc, v1, v15
	v_addc_co_u32_e32 v3, vcc, v3, v19, vcc
	v_ashrrev_i32_e32 v15, 31, v29
	v_add_co_u32_e32 v19, vcc, v28, v15
	v_xor_b32_e32 v19, v19, v15
	v_addc_co_u32_e32 v21, vcc, v29, v15, vcc
	v_mad_u64_u32 v[32:33], s[8:9], v19, v3, 0
	v_mul_hi_u32 v27, v19, v1
	v_xor_b32_e32 v21, v21, v15
	v_add_co_u32_e32 v27, vcc, v27, v32
	v_addc_co_u32_e32 v36, vcc, 0, v33, vcc
	v_mad_u64_u32 v[34:35], s[8:9], v21, v1, 0
	v_add_co_u32_e32 v1, vcc, v27, v34
	v_mad_u64_u32 v[32:33], s[8:9], v21, v3, 0
	v_addc_co_u32_e32 v1, vcc, v36, v35, vcc
	v_addc_co_u32_e32 v3, vcc, 0, v33, vcc
	v_add_co_u32_e32 v1, vcc, v1, v32
	v_addc_co_u32_e32 v3, vcc, 0, v3, vcc
	v_mul_lo_u32 v27, s53, v1
	v_mul_lo_u32 v3, s52, v3
	v_mad_u64_u32 v[32:33], s[8:9], s52, v1, 0
	v_add3_u32 v3, v33, v3, v27
	v_sub_u32_e32 v27, v21, v3
	v_mov_b32_e32 v33, s53
	v_sub_co_u32_e32 v19, vcc, v19, v32
	v_subb_co_u32_e64 v27, s[8:9], v27, v33, vcc
	v_subrev_co_u32_e64 v32, s[8:9], s52, v19
	v_subbrev_co_u32_e64 v27, s[8:9], 0, v27, s[8:9]
	v_cmp_le_u32_e64 s[8:9], s53, v27
	v_subb_co_u32_e32 v3, vcc, v21, v3, vcc
	v_cndmask_b32_e64 v33, 0, -1, s[8:9]
	v_cmp_le_u32_e64 s[8:9], s52, v32
	v_cmp_le_u32_e32 vcc, s53, v3
	v_cndmask_b32_e64 v32, 0, -1, s[8:9]
	v_cmp_eq_u32_e64 s[8:9], s53, v27
	v_cndmask_b32_e64 v21, 0, -1, vcc
	v_cmp_le_u32_e32 vcc, s52, v19
	v_cndmask_b32_e64 v27, v33, v32, s[8:9]
	v_cndmask_b32_e64 v19, 0, -1, vcc
	v_cmp_eq_u32_e32 vcc, s53, v3
	v_add_co_u32_e64 v32, s[8:9], 2, v1
	v_add_co_u32_e64 v33, s[8:9], 1, v1
	v_cndmask_b32_e32 v3, v21, v19, vcc
	v_cmp_ne_u32_e32 vcc, 0, v27
	v_cndmask_b32_e32 v19, v33, v32, vcc
	v_cmp_ne_u32_e32 vcc, 0, v3
	v_cndmask_b32_e32 v1, v1, v19, vcc
	v_xor_b32_e32 v3, s50, v15
	v_xor_b32_e32 v1, v1, v3
	v_sub_co_u32_e32 v32, vcc, v1, v3
.LBB8_71:                               ;   in Loop: Header=BB8_69 Depth=5
	s_or_saveexec_b64 s[8:9], s[48:49]
	v_cvt_f32_u32_e32 v3, s61
	s_xor_b64 exec, exec, s[8:9]
	s_cbranch_execz .LBB8_73
; %bb.72:                               ;   in Loop: Header=BB8_69 Depth=5
	v_rcp_iflag_f32_e32 v1, v3
	s_sub_i32 s29, 0, s61
	v_mul_f32_e32 v1, 0x4f7ffffe, v1
	v_cvt_u32_f32_e32 v1, v1
	v_mul_lo_u32 v15, s29, v1
	v_mul_hi_u32 v15, v1, v15
	v_add_u32_e32 v1, v1, v15
	v_mul_hi_u32 v1, v28, v1
	v_mul_lo_u32 v15, v1, s61
	v_sub_u32_e32 v15, v28, v15
	v_add_u32_e32 v19, 1, v1
	v_subrev_u32_e32 v21, s61, v15
	v_cmp_le_u32_e32 vcc, s61, v15
	v_cndmask_b32_e32 v15, v15, v21, vcc
	v_cndmask_b32_e32 v1, v1, v19, vcc
	v_add_u32_e32 v19, 1, v1
	v_cmp_le_u32_e32 vcc, s61, v15
	v_cndmask_b32_e32 v32, v1, v19, vcc
.LBB8_73:                               ;   in Loop: Header=BB8_69 Depth=5
	s_or_b64 exec, exec, s[8:9]
	v_or_b32_e32 v1, s60, v31
	v_cmp_ne_u64_e32 vcc, 0, v[0:1]
                                        ; implicit-def: $vgpr34_vgpr35
	s_and_saveexec_b64 s[8:9], vcc
	s_xor_b64 s[48:49], exec, s[8:9]
	s_cbranch_execz .LBB8_75
; %bb.74:                               ;   in Loop: Header=BB8_69 Depth=5
	s_add_u32 s8, s61, s60
	s_mov_b32 s50, s60
	s_mov_b32 s51, s60
	s_addc_u32 s9, s60, s60
	s_xor_b64 s[52:53], s[8:9], s[50:51]
	v_cvt_f32_u32_e32 v1, s52
	v_cvt_f32_u32_e32 v15, s53
	s_sub_u32 s8, 0, s52
	s_subb_u32 s9, 0, s53
	v_mac_f32_e32 v1, 0x4f800000, v15
	v_rcp_f32_e32 v1, v1
	v_mul_f32_e32 v1, 0x5f7ffffc, v1
	v_mul_f32_e32 v15, 0x2f800000, v1
	v_trunc_f32_e32 v15, v15
	v_mac_f32_e32 v1, 0xcf800000, v15
	v_cvt_u32_f32_e32 v15, v15
	v_cvt_u32_f32_e32 v1, v1
	v_mul_lo_u32 v19, s8, v15
	v_mul_hi_u32 v27, s8, v1
	v_mul_lo_u32 v21, s9, v1
	v_add_u32_e32 v19, v27, v19
	v_mul_lo_u32 v33, s8, v1
	v_add_u32_e32 v19, v19, v21
	v_mul_lo_u32 v27, v1, v19
	v_mul_hi_u32 v34, v1, v33
	v_mul_hi_u32 v21, v1, v19
	v_add_co_u32_e32 v27, vcc, v34, v27
	v_addc_co_u32_e32 v21, vcc, 0, v21, vcc
	v_mul_hi_u32 v35, v15, v33
	v_mul_lo_u32 v33, v15, v33
	v_add_co_u32_e32 v27, vcc, v27, v33
	v_mul_hi_u32 v34, v15, v19
	v_addc_co_u32_e32 v21, vcc, v21, v35, vcc
	v_addc_co_u32_e32 v27, vcc, 0, v34, vcc
	v_mul_lo_u32 v19, v15, v19
	v_add_co_u32_e32 v19, vcc, v21, v19
	v_addc_co_u32_e32 v21, vcc, 0, v27, vcc
	v_add_co_u32_e32 v1, vcc, v1, v19
	v_addc_co_u32_e32 v15, vcc, v15, v21, vcc
	v_mul_lo_u32 v19, s8, v15
	v_mul_hi_u32 v21, s8, v1
	v_add_u32_e32 v19, v21, v19
	v_mul_lo_u32 v21, s9, v1
	v_add_u32_e32 v19, v19, v21
	v_mul_lo_u32 v27, s8, v1
	v_mul_hi_u32 v33, v15, v27
	v_mul_lo_u32 v34, v15, v27
	v_mul_lo_u32 v36, v1, v19
	v_mul_hi_u32 v27, v1, v27
	v_mul_hi_u32 v35, v1, v19
	v_add_co_u32_e32 v27, vcc, v27, v36
	v_addc_co_u32_e32 v35, vcc, 0, v35, vcc
	v_add_co_u32_e32 v27, vcc, v27, v34
	v_mul_hi_u32 v21, v15, v19
	v_addc_co_u32_e32 v27, vcc, v35, v33, vcc
	v_addc_co_u32_e32 v21, vcc, 0, v21, vcc
	v_mul_lo_u32 v19, v15, v19
	v_add_co_u32_e32 v19, vcc, v27, v19
	v_addc_co_u32_e32 v21, vcc, 0, v21, vcc
	v_add_co_u32_e32 v1, vcc, v1, v19
	v_addc_co_u32_e32 v15, vcc, v15, v21, vcc
	v_ashrrev_i32_e32 v19, 31, v31
	v_add_co_u32_e32 v21, vcc, v30, v19
	v_xor_b32_e32 v21, v21, v19
	v_addc_co_u32_e32 v27, vcc, v31, v19, vcc
	v_mad_u64_u32 v[34:35], s[8:9], v21, v15, 0
	v_mul_hi_u32 v33, v21, v1
	v_xor_b32_e32 v27, v27, v19
	v_add_co_u32_e32 v33, vcc, v33, v34
	v_addc_co_u32_e32 v38, vcc, 0, v35, vcc
	v_mad_u64_u32 v[36:37], s[8:9], v27, v1, 0
	v_add_co_u32_e32 v1, vcc, v33, v36
	v_mad_u64_u32 v[34:35], s[8:9], v27, v15, 0
	v_addc_co_u32_e32 v1, vcc, v38, v37, vcc
	v_addc_co_u32_e32 v15, vcc, 0, v35, vcc
	v_add_co_u32_e32 v1, vcc, v1, v34
	v_addc_co_u32_e32 v15, vcc, 0, v15, vcc
	v_mul_lo_u32 v33, s53, v1
	v_mul_lo_u32 v36, s52, v15
	v_mad_u64_u32 v[34:35], s[8:9], s52, v1, 0
	v_add3_u32 v33, v35, v36, v33
	v_sub_u32_e32 v35, v27, v33
	v_mov_b32_e32 v36, s53
	v_sub_co_u32_e32 v21, vcc, v21, v34
	v_subb_co_u32_e64 v34, s[8:9], v35, v36, vcc
	v_subrev_co_u32_e64 v35, s[8:9], s52, v21
	v_subbrev_co_u32_e64 v34, s[8:9], 0, v34, s[8:9]
	v_cmp_le_u32_e64 s[8:9], s53, v34
	v_cndmask_b32_e64 v36, 0, -1, s[8:9]
	v_cmp_le_u32_e64 s[8:9], s52, v35
	v_cndmask_b32_e64 v35, 0, -1, s[8:9]
	v_cmp_eq_u32_e64 s[8:9], s53, v34
	v_cndmask_b32_e64 v34, v36, v35, s[8:9]
	v_add_co_u32_e64 v35, s[8:9], 2, v1
	v_subb_co_u32_e32 v27, vcc, v27, v33, vcc
	v_addc_co_u32_e64 v36, s[8:9], 0, v15, s[8:9]
	v_cmp_le_u32_e32 vcc, s53, v27
	v_add_co_u32_e64 v37, s[8:9], 1, v1
	v_cndmask_b32_e64 v33, 0, -1, vcc
	v_cmp_le_u32_e32 vcc, s52, v21
	v_addc_co_u32_e64 v38, s[8:9], 0, v15, s[8:9]
	v_cndmask_b32_e64 v21, 0, -1, vcc
	v_cmp_eq_u32_e32 vcc, s53, v27
	v_cmp_ne_u32_e64 s[8:9], 0, v34
	v_cndmask_b32_e32 v21, v33, v21, vcc
	v_cmp_ne_u32_e32 vcc, 0, v21
	v_cndmask_b32_e64 v21, v37, v35, s[8:9]
	v_cndmask_b32_e64 v34, v38, v36, s[8:9]
	v_cndmask_b32_e32 v1, v1, v21, vcc
	v_xor_b32_e32 v21, s51, v19
	v_xor_b32_e32 v19, s50, v19
	v_cndmask_b32_e32 v15, v15, v34, vcc
	v_xor_b32_e32 v1, v1, v19
	v_xor_b32_e32 v15, v15, v21
	v_sub_co_u32_e32 v34, vcc, v1, v19
	v_subb_co_u32_e32 v35, vcc, v15, v21, vcc
.LBB8_75:                               ;   in Loop: Header=BB8_69 Depth=5
	s_andn2_saveexec_b64 s[8:9], s[48:49]
	s_cbranch_execz .LBB8_77
; %bb.76:                               ;   in Loop: Header=BB8_69 Depth=5
	v_rcp_iflag_f32_e32 v1, v3
	s_sub_i32 s29, 0, s61
	v_mov_b32_e32 v35, v0
	v_mul_f32_e32 v1, 0x4f7ffffe, v1
	v_cvt_u32_f32_e32 v1, v1
	v_mul_lo_u32 v15, s29, v1
	v_mul_hi_u32 v15, v1, v15
	v_add_u32_e32 v1, v1, v15
	v_mul_hi_u32 v1, v30, v1
	v_mul_lo_u32 v15, v1, s61
	v_sub_u32_e32 v15, v30, v15
	v_add_u32_e32 v19, 1, v1
	v_subrev_u32_e32 v21, s61, v15
	v_cmp_le_u32_e32 vcc, s61, v15
	v_cndmask_b32_e32 v15, v15, v21, vcc
	v_cndmask_b32_e32 v1, v1, v19, vcc
	v_add_u32_e32 v19, 1, v1
	v_cmp_le_u32_e32 vcc, s61, v15
	v_cndmask_b32_e32 v34, v1, v19, vcc
.LBB8_77:                               ;   in Loop: Header=BB8_69 Depth=5
	s_or_b64 exec, exec, s[8:9]
	v_mul_lo_u32 v1, v35, s61
	v_mul_lo_u32 v15, v34, s60
	v_mad_u64_u32 v[36:37], s[8:9], v34, s61, 0
	v_add3_u32 v1, v37, v15, v1
	v_sub_co_u32_e32 v15, vcc, v30, v36
	v_subb_co_u32_e32 v1, vcc, v31, v1, vcc
	v_mul_lo_u32 v1, v1, s54
	v_mul_lo_u32 v19, v15, s33
	v_mad_u64_u32 v[36:37], s[8:9], v15, s54, 0
	v_add3_u32 v37, v37, v19, v1
	v_or_b32_e32 v1, s60, v37
	v_cmp_ne_u64_e32 vcc, 0, v[0:1]
                                        ; implicit-def: $vgpr38_vgpr39
	s_and_saveexec_b64 s[8:9], vcc
	s_xor_b64 s[48:49], exec, s[8:9]
	s_cbranch_execz .LBB8_79
; %bb.78:                               ;   in Loop: Header=BB8_69 Depth=5
	s_add_u32 s8, s61, s60
	s_mov_b32 s50, s60
	s_mov_b32 s51, s60
	s_addc_u32 s9, s60, s60
	s_xor_b64 s[52:53], s[8:9], s[50:51]
	v_cvt_f32_u32_e32 v1, s52
	v_cvt_f32_u32_e32 v3, s53
	s_sub_u32 s8, 0, s52
	s_subb_u32 s9, 0, s53
	v_mac_f32_e32 v1, 0x4f800000, v3
	v_rcp_f32_e32 v1, v1
	v_mul_f32_e32 v1, 0x5f7ffffc, v1
	v_mul_f32_e32 v3, 0x2f800000, v1
	v_trunc_f32_e32 v3, v3
	v_mac_f32_e32 v1, 0xcf800000, v3
	v_cvt_u32_f32_e32 v3, v3
	v_cvt_u32_f32_e32 v1, v1
	v_mul_lo_u32 v15, s8, v3
	v_mul_hi_u32 v21, s8, v1
	v_mul_lo_u32 v19, s9, v1
	v_add_u32_e32 v15, v21, v15
	v_mul_lo_u32 v27, s8, v1
	v_add_u32_e32 v15, v15, v19
	v_mul_lo_u32 v21, v1, v15
	v_mul_hi_u32 v33, v1, v27
	v_mul_hi_u32 v19, v1, v15
	v_add_co_u32_e32 v21, vcc, v33, v21
	v_addc_co_u32_e32 v19, vcc, 0, v19, vcc
	v_mul_hi_u32 v35, v3, v27
	v_mul_lo_u32 v27, v3, v27
	v_add_co_u32_e32 v21, vcc, v21, v27
	v_mul_hi_u32 v33, v3, v15
	v_addc_co_u32_e32 v19, vcc, v19, v35, vcc
	v_addc_co_u32_e32 v21, vcc, 0, v33, vcc
	v_mul_lo_u32 v15, v3, v15
	v_add_co_u32_e32 v15, vcc, v19, v15
	v_addc_co_u32_e32 v19, vcc, 0, v21, vcc
	v_add_co_u32_e32 v1, vcc, v1, v15
	v_addc_co_u32_e32 v3, vcc, v3, v19, vcc
	v_mul_lo_u32 v15, s8, v3
	v_mul_hi_u32 v19, s8, v1
	v_add_u32_e32 v15, v19, v15
	v_mul_lo_u32 v19, s9, v1
	v_add_u32_e32 v15, v15, v19
	v_mul_lo_u32 v21, s8, v1
	v_mul_hi_u32 v27, v3, v21
	v_mul_lo_u32 v33, v3, v21
	v_mul_lo_u32 v38, v1, v15
	v_mul_hi_u32 v21, v1, v21
	v_mul_hi_u32 v35, v1, v15
	v_add_co_u32_e32 v21, vcc, v21, v38
	v_addc_co_u32_e32 v35, vcc, 0, v35, vcc
	v_add_co_u32_e32 v21, vcc, v21, v33
	v_mul_hi_u32 v19, v3, v15
	v_addc_co_u32_e32 v21, vcc, v35, v27, vcc
	v_addc_co_u32_e32 v19, vcc, 0, v19, vcc
	v_mul_lo_u32 v15, v3, v15
	v_add_co_u32_e32 v15, vcc, v21, v15
	v_addc_co_u32_e32 v19, vcc, 0, v19, vcc
	v_add_co_u32_e32 v1, vcc, v1, v15
	v_addc_co_u32_e32 v3, vcc, v3, v19, vcc
	v_ashrrev_i32_e32 v15, 31, v37
	v_add_co_u32_e32 v19, vcc, v36, v15
	v_xor_b32_e32 v19, v19, v15
	v_addc_co_u32_e32 v21, vcc, v37, v15, vcc
	v_mad_u64_u32 v[36:37], s[8:9], v19, v3, 0
	v_mul_hi_u32 v27, v19, v1
	v_xor_b32_e32 v21, v21, v15
	v_add_co_u32_e32 v27, vcc, v27, v36
	v_addc_co_u32_e32 v33, vcc, 0, v37, vcc
	v_mad_u64_u32 v[38:39], s[8:9], v21, v1, 0
	v_add_co_u32_e32 v1, vcc, v27, v38
	v_mad_u64_u32 v[36:37], s[8:9], v21, v3, 0
	v_addc_co_u32_e32 v1, vcc, v33, v39, vcc
	v_addc_co_u32_e32 v3, vcc, 0, v37, vcc
	v_add_co_u32_e32 v1, vcc, v1, v36
	v_addc_co_u32_e32 v3, vcc, 0, v3, vcc
	v_mul_lo_u32 v27, s53, v1
	v_mul_lo_u32 v3, s52, v3
	v_mad_u64_u32 v[36:37], s[8:9], s52, v1, 0
	v_add3_u32 v3, v37, v3, v27
	v_sub_u32_e32 v27, v21, v3
	v_mov_b32_e32 v33, s53
	v_sub_co_u32_e32 v19, vcc, v19, v36
	v_subb_co_u32_e64 v27, s[8:9], v27, v33, vcc
	v_subrev_co_u32_e64 v33, s[8:9], s52, v19
	v_subbrev_co_u32_e64 v27, s[8:9], 0, v27, s[8:9]
	v_cmp_le_u32_e64 s[8:9], s53, v27
	v_subb_co_u32_e32 v3, vcc, v21, v3, vcc
	v_cndmask_b32_e64 v35, 0, -1, s[8:9]
	v_cmp_le_u32_e64 s[8:9], s52, v33
	v_cmp_le_u32_e32 vcc, s53, v3
	v_cndmask_b32_e64 v33, 0, -1, s[8:9]
	v_cmp_eq_u32_e64 s[8:9], s53, v27
	v_cndmask_b32_e64 v21, 0, -1, vcc
	v_cmp_le_u32_e32 vcc, s52, v19
	v_cndmask_b32_e64 v27, v35, v33, s[8:9]
	v_cndmask_b32_e64 v19, 0, -1, vcc
	v_cmp_eq_u32_e32 vcc, s53, v3
	v_add_co_u32_e64 v33, s[8:9], 2, v1
	v_add_co_u32_e64 v35, s[8:9], 1, v1
	v_cndmask_b32_e32 v3, v21, v19, vcc
	v_cmp_ne_u32_e32 vcc, 0, v27
	v_cndmask_b32_e32 v19, v35, v33, vcc
	v_cmp_ne_u32_e32 vcc, 0, v3
	v_cndmask_b32_e32 v1, v1, v19, vcc
	v_xor_b32_e32 v3, s50, v15
	v_xor_b32_e32 v1, v1, v3
	v_sub_co_u32_e32 v38, vcc, v1, v3
                                        ; implicit-def: $vgpr3
                                        ; implicit-def: $vgpr36_vgpr37
.LBB8_79:                               ;   in Loop: Header=BB8_69 Depth=5
	s_andn2_saveexec_b64 s[8:9], s[48:49]
	s_cbranch_execz .LBB8_68
; %bb.80:                               ;   in Loop: Header=BB8_69 Depth=5
	v_rcp_iflag_f32_e32 v1, v3
	s_sub_i32 s29, 0, s61
	v_mul_f32_e32 v1, 0x4f7ffffe, v1
	v_cvt_u32_f32_e32 v1, v1
	v_mul_lo_u32 v3, s29, v1
	v_mul_hi_u32 v3, v1, v3
	v_add_u32_e32 v1, v1, v3
	v_mul_hi_u32 v1, v36, v1
	v_mul_lo_u32 v3, v1, s61
	v_sub_u32_e32 v3, v36, v3
	v_add_u32_e32 v15, 1, v1
	v_subrev_u32_e32 v19, s61, v3
	v_cmp_le_u32_e32 vcc, s61, v3
	v_cndmask_b32_e32 v3, v3, v19, vcc
	v_cndmask_b32_e32 v1, v1, v15, vcc
	v_add_u32_e32 v15, 1, v1
	v_cmp_le_u32_e32 vcc, s61, v3
	v_cndmask_b32_e32 v38, v1, v15, vcc
	s_branch .LBB8_68
.LBB8_81:                               ;   in Loop: Header=BB8_42 Depth=3
                                        ; implicit-def: $vgpr18_vgpr19
	v_cvt_f32_u32_e32 v1, s18
	s_branch .LBB8_44
.LBB8_82:                               ;   in Loop: Header=BB8_42 Depth=3
                                        ; implicit-def: $sgpr42_sgpr43
	s_branch .LBB8_47
.LBB8_83:                               ;   in Loop: Header=BB8_42 Depth=3
                                        ; implicit-def: $vgpr20_vgpr21
	s_branch .LBB8_50
.LBB8_84:
	s_endpgm
.LBB8_85:
                                        ; implicit-def: $sgpr8_sgpr9
	v_cvt_f32_u32_e32 v1, s10
	s_branch .LBB8_2
.LBB8_86:
                                        ; implicit-def: $sgpr20_sgpr21
	s_branch .LBB8_5
.LBB8_87:
                                        ; implicit-def: $vgpr4_vgpr5
	s_load_dword s0, s[4:5], 0x3c
	s_andn2_b64 vcc, exec, s[24:25]
	s_cbranch_vccz .LBB8_8
	s_branch .LBB8_9
	.section	.rodata,"a",@progbits
	.p2align	6, 0x0
	.amdhsa_kernel _ZN2at6native12_GLOBAL__N_124adaptiveaveragegradinputIddEEvPT_PKS3_iiiiiil
		.amdhsa_group_segment_fixed_size 0
		.amdhsa_private_segment_fixed_size 0
		.amdhsa_kernarg_size 304
		.amdhsa_user_sgpr_count 6
		.amdhsa_user_sgpr_private_segment_buffer 1
		.amdhsa_user_sgpr_dispatch_ptr 0
		.amdhsa_user_sgpr_queue_ptr 0
		.amdhsa_user_sgpr_kernarg_segment_ptr 1
		.amdhsa_user_sgpr_dispatch_id 0
		.amdhsa_user_sgpr_flat_scratch_init 0
		.amdhsa_user_sgpr_kernarg_preload_length 0
		.amdhsa_user_sgpr_kernarg_preload_offset 0
		.amdhsa_user_sgpr_private_segment_size 0
		.amdhsa_uses_dynamic_stack 0
		.amdhsa_system_sgpr_private_segment_wavefront_offset 0
		.amdhsa_system_sgpr_workgroup_id_x 1
		.amdhsa_system_sgpr_workgroup_id_y 1
		.amdhsa_system_sgpr_workgroup_id_z 0
		.amdhsa_system_sgpr_workgroup_info 0
		.amdhsa_system_vgpr_workitem_id 1
		.amdhsa_next_free_vgpr 50
		.amdhsa_next_free_sgpr 64
		.amdhsa_accum_offset 52
		.amdhsa_reserve_vcc 1
		.amdhsa_reserve_flat_scratch 0
		.amdhsa_float_round_mode_32 0
		.amdhsa_float_round_mode_16_64 0
		.amdhsa_float_denorm_mode_32 3
		.amdhsa_float_denorm_mode_16_64 3
		.amdhsa_dx10_clamp 1
		.amdhsa_ieee_mode 1
		.amdhsa_fp16_overflow 0
		.amdhsa_tg_split 0
		.amdhsa_exception_fp_ieee_invalid_op 0
		.amdhsa_exception_fp_denorm_src 0
		.amdhsa_exception_fp_ieee_div_zero 0
		.amdhsa_exception_fp_ieee_overflow 0
		.amdhsa_exception_fp_ieee_underflow 0
		.amdhsa_exception_fp_ieee_inexact 0
		.amdhsa_exception_int_div_zero 0
	.end_amdhsa_kernel
	.section	.text._ZN2at6native12_GLOBAL__N_124adaptiveaveragegradinputIddEEvPT_PKS3_iiiiiil,"axG",@progbits,_ZN2at6native12_GLOBAL__N_124adaptiveaveragegradinputIddEEvPT_PKS3_iiiiiil,comdat
.Lfunc_end8:
	.size	_ZN2at6native12_GLOBAL__N_124adaptiveaveragegradinputIddEEvPT_PKS3_iiiiiil, .Lfunc_end8-_ZN2at6native12_GLOBAL__N_124adaptiveaveragegradinputIddEEvPT_PKS3_iiiiiil
                                        ; -- End function
	.section	.AMDGPU.csdata,"",@progbits
; Kernel info:
; codeLenInByte = 14360
; NumSgprs: 68
; NumVgprs: 50
; NumAgprs: 0
; TotalNumVgprs: 50
; ScratchSize: 0
; MemoryBound: 0
; FloatMode: 240
; IeeeMode: 1
; LDSByteSize: 0 bytes/workgroup (compile time only)
; SGPRBlocks: 8
; VGPRBlocks: 6
; NumSGPRsForWavesPerEU: 68
; NumVGPRsForWavesPerEU: 50
; AccumOffset: 52
; Occupancy: 8
; WaveLimiterHint : 0
; COMPUTE_PGM_RSRC2:SCRATCH_EN: 0
; COMPUTE_PGM_RSRC2:USER_SGPR: 6
; COMPUTE_PGM_RSRC2:TRAP_HANDLER: 0
; COMPUTE_PGM_RSRC2:TGID_X_EN: 1
; COMPUTE_PGM_RSRC2:TGID_Y_EN: 1
; COMPUTE_PGM_RSRC2:TGID_Z_EN: 0
; COMPUTE_PGM_RSRC2:TIDIG_COMP_CNT: 1
; COMPUTE_PGM_RSRC3_GFX90A:ACCUM_OFFSET: 12
; COMPUTE_PGM_RSRC3_GFX90A:TG_SPLIT: 0
	.section	.text._ZN2at6native12_GLOBAL__N_124adaptiveaveragegradinputIffEEvPT_PKS3_iiiiiil,"axG",@progbits,_ZN2at6native12_GLOBAL__N_124adaptiveaveragegradinputIffEEvPT_PKS3_iiiiiil,comdat
	.globl	_ZN2at6native12_GLOBAL__N_124adaptiveaveragegradinputIffEEvPT_PKS3_iiiiiil ; -- Begin function _ZN2at6native12_GLOBAL__N_124adaptiveaveragegradinputIffEEvPT_PKS3_iiiiiil
	.p2align	8
	.type	_ZN2at6native12_GLOBAL__N_124adaptiveaveragegradinputIffEEvPT_PKS3_iiiiiil,@function
_ZN2at6native12_GLOBAL__N_124adaptiveaveragegradinputIffEEvPT_PKS3_iiiiiil: ; @_ZN2at6native12_GLOBAL__N_124adaptiveaveragegradinputIffEEvPT_PKS3_iiiiiil
; %bb.0:
	s_load_dwordx8 s[12:19], s[4:5], 0x10
	s_mov_b32 s0, 0
	s_waitcnt lgkmcnt(0)
	s_add_u32 s2, s6, s18
	s_addc_u32 s3, 0, s19
	s_ashr_i32 s11, s12, 31
	s_mov_b32 s10, s12
	s_or_b64 s[8:9], s[2:3], s[10:11]
	s_mov_b32 s1, s9
	s_cmp_lg_u64 s[0:1], 0
	s_cbranch_scc0 .LBB9_85
; %bb.1:
	s_add_u32 s0, s10, s11
	s_mov_b32 s8, s11
	s_mov_b32 s9, s11
	s_addc_u32 s1, s11, s11
	s_xor_b64 s[20:21], s[0:1], s[8:9]
	v_cvt_f32_u32_e32 v1, s20
	v_cvt_f32_u32_e32 v2, s21
	s_sub_u32 s0, 0, s20
	s_subb_u32 s1, 0, s21
	v_madmk_f32 v1, v2, 0x4f800000, v1
	v_rcp_f32_e32 v1, v1
	v_mul_f32_e32 v1, 0x5f7ffffc, v1
	v_mul_f32_e32 v2, 0x2f800000, v1
	v_trunc_f32_e32 v2, v2
	v_madmk_f32 v1, v2, 0xcf800000, v1
	v_cvt_u32_f32_e32 v2, v2
	v_cvt_u32_f32_e32 v1, v1
	v_readfirstlane_b32 s6, v2
	v_readfirstlane_b32 s12, v1
	s_mul_i32 s22, s0, s6
	s_mul_hi_u32 s24, s0, s12
	s_mul_i32 s23, s1, s12
	s_add_i32 s22, s24, s22
	s_add_i32 s22, s22, s23
	s_mul_i32 s25, s0, s12
	s_mul_hi_u32 s23, s12, s22
	s_mul_i32 s24, s12, s22
	s_mul_hi_u32 s12, s12, s25
	s_add_u32 s12, s12, s24
	s_addc_u32 s23, 0, s23
	s_mul_hi_u32 s26, s6, s25
	s_mul_i32 s25, s6, s25
	s_add_u32 s12, s12, s25
	s_mul_hi_u32 s24, s6, s22
	s_addc_u32 s12, s23, s26
	s_addc_u32 s23, s24, 0
	s_mul_i32 s22, s6, s22
	s_add_u32 s12, s12, s22
	s_addc_u32 s22, 0, s23
	v_add_co_u32_e32 v1, vcc, s12, v1
	s_cmp_lg_u64 vcc, 0
	s_addc_u32 s6, s6, s22
	v_readfirstlane_b32 s22, v1
	s_mul_i32 s12, s0, s6
	s_mul_hi_u32 s23, s0, s22
	s_add_i32 s12, s23, s12
	s_mul_i32 s1, s1, s22
	s_add_i32 s12, s12, s1
	s_mul_i32 s0, s0, s22
	s_mul_hi_u32 s23, s6, s0
	s_mul_i32 s24, s6, s0
	s_mul_i32 s26, s22, s12
	s_mul_hi_u32 s0, s22, s0
	s_mul_hi_u32 s25, s22, s12
	s_add_u32 s0, s0, s26
	s_addc_u32 s22, 0, s25
	s_add_u32 s0, s0, s24
	s_mul_hi_u32 s1, s6, s12
	s_addc_u32 s0, s22, s23
	s_addc_u32 s1, s1, 0
	s_mul_i32 s12, s6, s12
	s_add_u32 s0, s0, s12
	s_addc_u32 s1, 0, s1
	v_add_co_u32_e32 v1, vcc, s0, v1
	s_cmp_lg_u64 vcc, 0
	s_addc_u32 s6, s6, s1
	s_ashr_i32 s22, s3, 31
	s_add_u32 s0, s2, s22
	s_mov_b32 s23, s22
	s_addc_u32 s1, s3, s22
	s_xor_b64 s[24:25], s[0:1], s[22:23]
	v_readfirstlane_b32 s12, v1
	s_mul_i32 s1, s24, s6
	s_mul_hi_u32 s26, s24, s12
	s_mul_hi_u32 s0, s24, s6
	s_add_u32 s1, s26, s1
	s_addc_u32 s0, 0, s0
	s_mul_hi_u32 s27, s25, s12
	s_mul_i32 s12, s25, s12
	s_add_u32 s1, s1, s12
	s_mul_hi_u32 s26, s25, s6
	s_addc_u32 s0, s0, s27
	s_addc_u32 s1, s26, 0
	s_mul_i32 s6, s25, s6
	s_add_u32 s6, s0, s6
	s_addc_u32 s12, 0, s1
	s_mul_i32 s0, s20, s12
	s_mul_hi_u32 s1, s20, s6
	s_add_i32 s0, s1, s0
	s_mul_i32 s1, s21, s6
	s_add_i32 s26, s0, s1
	s_mul_i32 s1, s20, s6
	v_mov_b32_e32 v1, s1
	s_sub_i32 s0, s25, s26
	v_sub_co_u32_e32 v1, vcc, s24, v1
	s_cmp_lg_u64 vcc, 0
	s_subb_u32 s24, s0, s21
	v_subrev_co_u32_e64 v2, s[0:1], s20, v1
	s_cmp_lg_u64 s[0:1], 0
	s_subb_u32 s0, s24, 0
	s_cmp_ge_u32 s0, s21
	v_readfirstlane_b32 s24, v2
	s_cselect_b32 s1, -1, 0
	s_cmp_ge_u32 s24, s20
	s_cselect_b32 s24, -1, 0
	s_cmp_eq_u32 s0, s21
	s_cselect_b32 s0, s24, s1
	s_add_u32 s1, s6, 1
	s_addc_u32 s24, s12, 0
	s_add_u32 s27, s6, 2
	s_addc_u32 s28, s12, 0
	s_cmp_lg_u32 s0, 0
	s_cselect_b32 s0, s27, s1
	s_cselect_b32 s1, s28, s24
	s_cmp_lg_u64 vcc, 0
	s_subb_u32 s24, s25, s26
	s_cmp_ge_u32 s24, s21
	v_readfirstlane_b32 s26, v1
	s_cselect_b32 s25, -1, 0
	s_cmp_ge_u32 s26, s20
	s_cselect_b32 s20, -1, 0
	s_cmp_eq_u32 s24, s21
	s_cselect_b32 s20, s20, s25
	s_cmp_lg_u32 s20, 0
	s_cselect_b32 s1, s1, s12
	s_cselect_b32 s0, s0, s6
	s_xor_b64 s[8:9], s[22:23], s[8:9]
	s_xor_b64 s[0:1], s[0:1], s[8:9]
	s_sub_u32 s8, s0, s8
	s_subb_u32 s9, s1, s9
	v_cvt_f32_u32_e32 v1, s10
	s_cbranch_execnz .LBB9_3
.LBB9_2:
	v_rcp_iflag_f32_e32 v2, v1
	s_sub_i32 s0, 0, s10
	s_mov_b32 s9, 0
	v_mul_f32_e32 v2, 0x4f7ffffe, v2
	v_cvt_u32_f32_e32 v2, v2
	v_readfirstlane_b32 s1, v2
	s_mul_i32 s0, s0, s1
	s_mul_hi_u32 s0, s1, s0
	s_add_i32 s1, s1, s0
	s_mul_hi_u32 s0, s2, s1
	s_mul_i32 s6, s0, s10
	s_sub_i32 s6, s2, s6
	s_add_i32 s1, s0, 1
	s_sub_i32 s8, s6, s10
	s_cmp_ge_u32 s6, s10
	s_cselect_b32 s0, s1, s0
	s_cselect_b32 s6, s8, s6
	s_add_i32 s1, s0, 1
	s_cmp_ge_u32 s6, s10
	s_cselect_b32 s8, s1, s0
.LBB9_3:
	s_mul_i32 s0, s8, s11
	s_mul_hi_u32 s1, s8, s10
	s_add_i32 s0, s1, s0
	s_mul_i32 s1, s9, s10
	s_add_i32 s0, s0, s1
	s_mul_i32 s1, s8, s10
	s_sub_u32 s1, s2, s1
	s_subb_u32 s0, s3, s0
	s_ashr_i32 s19, s15, 31
	s_mul_i32 s6, s1, s19
	s_mul_hi_u32 s9, s1, s15
	s_add_i32 s6, s9, s6
	s_mul_i32 s0, s0, s15
	s_add_i32 s23, s6, s0
	s_mul_i32 s22, s1, s15
	s_or_b64 s[0:1], s[22:23], s[10:11]
	s_mov_b32 s0, 0
	s_cmp_lg_u64 s[0:1], 0
	s_mov_b32 s18, s15
	s_cbranch_scc0 .LBB9_86
; %bb.4:
	s_add_u32 s0, s10, s11
	s_mov_b32 s20, s11
	s_mov_b32 s21, s11
	s_addc_u32 s1, s11, s11
	s_xor_b64 s[26:27], s[0:1], s[20:21]
	v_cvt_f32_u32_e32 v2, s26
	v_cvt_f32_u32_e32 v3, s27
	s_sub_u32 s0, 0, s26
	s_subb_u32 s1, 0, s27
	v_madmk_f32 v2, v3, 0x4f800000, v2
	v_rcp_f32_e32 v2, v2
	v_mul_f32_e32 v2, 0x5f7ffffc, v2
	v_mul_f32_e32 v3, 0x2f800000, v2
	v_trunc_f32_e32 v3, v3
	v_madmk_f32 v2, v3, 0xcf800000, v2
	v_cvt_u32_f32_e32 v3, v3
	v_cvt_u32_f32_e32 v2, v2
	v_readfirstlane_b32 s6, v3
	v_readfirstlane_b32 s9, v2
	s_mul_i32 s12, s0, s6
	s_mul_hi_u32 s29, s0, s9
	s_mul_i32 s28, s1, s9
	s_add_i32 s12, s29, s12
	s_add_i32 s12, s12, s28
	s_mul_i32 s30, s0, s9
	s_mul_hi_u32 s28, s9, s12
	s_mul_i32 s29, s9, s12
	s_mul_hi_u32 s9, s9, s30
	s_add_u32 s9, s9, s29
	s_addc_u32 s28, 0, s28
	s_mul_hi_u32 s31, s6, s30
	s_mul_i32 s30, s6, s30
	s_add_u32 s9, s9, s30
	s_mul_hi_u32 s29, s6, s12
	s_addc_u32 s9, s28, s31
	s_addc_u32 s28, s29, 0
	s_mul_i32 s12, s6, s12
	s_add_u32 s9, s9, s12
	s_addc_u32 s12, 0, s28
	v_add_co_u32_e32 v2, vcc, s9, v2
	s_cmp_lg_u64 vcc, 0
	s_addc_u32 s6, s6, s12
	v_readfirstlane_b32 s12, v2
	s_mul_i32 s9, s0, s6
	s_mul_hi_u32 s28, s0, s12
	s_add_i32 s9, s28, s9
	s_mul_i32 s1, s1, s12
	s_add_i32 s9, s9, s1
	s_mul_i32 s0, s0, s12
	s_mul_hi_u32 s28, s6, s0
	s_mul_i32 s29, s6, s0
	s_mul_i32 s31, s12, s9
	s_mul_hi_u32 s0, s12, s0
	s_mul_hi_u32 s30, s12, s9
	s_add_u32 s0, s0, s31
	s_addc_u32 s12, 0, s30
	s_add_u32 s0, s0, s29
	s_mul_hi_u32 s1, s6, s9
	s_addc_u32 s0, s12, s28
	s_addc_u32 s1, s1, 0
	s_mul_i32 s9, s6, s9
	s_add_u32 s0, s0, s9
	s_addc_u32 s1, 0, s1
	v_add_co_u32_e32 v2, vcc, s0, v2
	s_cmp_lg_u64 vcc, 0
	s_addc_u32 s6, s6, s1
	s_ashr_i32 s28, s23, 31
	s_add_u32 s0, s22, s28
	s_mov_b32 s29, s28
	s_addc_u32 s1, s23, s28
	s_xor_b64 s[30:31], s[0:1], s[28:29]
	v_readfirstlane_b32 s9, v2
	s_mul_i32 s1, s30, s6
	s_mul_hi_u32 s12, s30, s9
	s_mul_hi_u32 s0, s30, s6
	s_add_u32 s1, s12, s1
	s_addc_u32 s0, 0, s0
	s_mul_hi_u32 s33, s31, s9
	s_mul_i32 s9, s31, s9
	s_add_u32 s1, s1, s9
	s_mul_hi_u32 s12, s31, s6
	s_addc_u32 s0, s0, s33
	s_addc_u32 s1, s12, 0
	s_mul_i32 s6, s31, s6
	s_add_u32 s6, s0, s6
	s_addc_u32 s9, 0, s1
	s_mul_i32 s0, s26, s9
	s_mul_hi_u32 s1, s26, s6
	s_add_i32 s0, s1, s0
	s_mul_i32 s1, s27, s6
	s_add_i32 s12, s0, s1
	s_mul_i32 s1, s26, s6
	v_mov_b32_e32 v2, s1
	s_sub_i32 s0, s31, s12
	v_sub_co_u32_e32 v2, vcc, s30, v2
	s_cmp_lg_u64 vcc, 0
	s_subb_u32 s30, s0, s27
	v_subrev_co_u32_e64 v3, s[0:1], s26, v2
	s_cmp_lg_u64 s[0:1], 0
	s_subb_u32 s0, s30, 0
	s_cmp_ge_u32 s0, s27
	v_readfirstlane_b32 s30, v3
	s_cselect_b32 s1, -1, 0
	s_cmp_ge_u32 s30, s26
	s_cselect_b32 s30, -1, 0
	s_cmp_eq_u32 s0, s27
	s_cselect_b32 s0, s30, s1
	s_add_u32 s1, s6, 1
	s_addc_u32 s30, s9, 0
	s_add_u32 s33, s6, 2
	s_addc_u32 s34, s9, 0
	s_cmp_lg_u32 s0, 0
	s_cselect_b32 s0, s33, s1
	s_cselect_b32 s1, s34, s30
	s_cmp_lg_u64 vcc, 0
	s_subb_u32 s12, s31, s12
	s_cmp_ge_u32 s12, s27
	v_readfirstlane_b32 s31, v2
	s_cselect_b32 s30, -1, 0
	s_cmp_ge_u32 s31, s26
	s_cselect_b32 s26, -1, 0
	s_cmp_eq_u32 s12, s27
	s_cselect_b32 s12, s26, s30
	s_cmp_lg_u32 s12, 0
	s_cselect_b32 s1, s1, s9
	s_cselect_b32 s0, s0, s6
	s_xor_b64 s[20:21], s[28:29], s[20:21]
	s_xor_b64 s[0:1], s[0:1], s[20:21]
	s_sub_u32 s20, s0, s20
	s_cbranch_execnz .LBB9_6
.LBB9_5:
	v_rcp_iflag_f32_e32 v2, v1
	s_sub_i32 s0, 0, s10
	v_mul_f32_e32 v2, 0x4f7ffffe, v2
	v_cvt_u32_f32_e32 v2, v2
	v_readfirstlane_b32 s1, v2
	s_mul_i32 s0, s0, s1
	s_mul_hi_u32 s0, s1, s0
	s_add_i32 s1, s1, s0
	s_mul_hi_u32 s0, s22, s1
	s_mul_i32 s6, s0, s10
	s_sub_i32 s6, s22, s6
	s_add_i32 s1, s0, 1
	s_sub_i32 s9, s6, s10
	s_cmp_ge_u32 s6, s10
	s_cselect_b32 s0, s1, s0
	s_cselect_b32 s6, s9, s6
	s_add_i32 s1, s0, 1
	s_cmp_ge_u32 s6, s10
	s_cselect_b32 s20, s1, s0
.LBB9_6:
	s_add_u32 s0, s22, s18
	s_addc_u32 s1, s23, s19
	s_add_u32 s22, s0, -1
	s_addc_u32 s23, s1, -1
	s_or_b64 s[0:1], s[22:23], s[10:11]
	s_mov_b32 s0, 0
	s_cmp_lg_u64 s[0:1], 0
	s_mov_b64 s[24:25], -1
	s_cbranch_scc0 .LBB9_87
; %bb.7:
	s_add_u32 s0, s10, s11
	s_mov_b32 s26, s11
	s_mov_b32 s27, s11
	s_addc_u32 s1, s11, s11
	s_xor_b64 s[28:29], s[0:1], s[26:27]
	v_cvt_f32_u32_e32 v2, s28
	v_cvt_f32_u32_e32 v3, s29
	s_sub_u32 s0, 0, s28
	s_subb_u32 s1, 0, s29
	v_madmk_f32 v2, v3, 0x4f800000, v2
	v_rcp_f32_e32 v2, v2
	v_mul_f32_e32 v2, 0x5f7ffffc, v2
	v_mul_f32_e32 v3, 0x2f800000, v2
	v_trunc_f32_e32 v3, v3
	v_madmk_f32 v2, v3, 0xcf800000, v2
	v_cvt_u32_f32_e32 v3, v3
	v_cvt_u32_f32_e32 v2, v2
	v_readfirstlane_b32 s6, v3
	v_readfirstlane_b32 s9, v2
	s_mul_i32 s12, s0, s6
	s_mul_hi_u32 s30, s0, s9
	s_mul_i32 s21, s1, s9
	s_add_i32 s12, s30, s12
	s_add_i32 s12, s12, s21
	s_mul_i32 s31, s0, s9
	s_mul_hi_u32 s21, s9, s12
	s_mul_i32 s30, s9, s12
	s_mul_hi_u32 s9, s9, s31
	s_add_u32 s9, s9, s30
	s_addc_u32 s21, 0, s21
	s_mul_hi_u32 s33, s6, s31
	s_mul_i32 s31, s6, s31
	s_add_u32 s9, s9, s31
	s_mul_hi_u32 s30, s6, s12
	s_addc_u32 s9, s21, s33
	s_addc_u32 s21, s30, 0
	s_mul_i32 s12, s6, s12
	s_add_u32 s9, s9, s12
	s_addc_u32 s12, 0, s21
	v_add_co_u32_e32 v2, vcc, s9, v2
	s_cmp_lg_u64 vcc, 0
	s_addc_u32 s6, s6, s12
	v_readfirstlane_b32 s12, v2
	s_mul_i32 s9, s0, s6
	s_mul_hi_u32 s21, s0, s12
	s_add_i32 s9, s21, s9
	s_mul_i32 s1, s1, s12
	s_add_i32 s9, s9, s1
	s_mul_i32 s0, s0, s12
	s_mul_hi_u32 s21, s6, s0
	s_mul_i32 s30, s6, s0
	s_mul_i32 s33, s12, s9
	s_mul_hi_u32 s0, s12, s0
	s_mul_hi_u32 s31, s12, s9
	s_add_u32 s0, s0, s33
	s_addc_u32 s12, 0, s31
	s_add_u32 s0, s0, s30
	s_mul_hi_u32 s1, s6, s9
	s_addc_u32 s0, s12, s21
	s_addc_u32 s1, s1, 0
	s_mul_i32 s9, s6, s9
	s_add_u32 s0, s0, s9
	s_addc_u32 s1, 0, s1
	v_add_co_u32_e32 v2, vcc, s0, v2
	s_cmp_lg_u64 vcc, 0
	s_addc_u32 s6, s6, s1
	s_ashr_i32 s30, s23, 31
	s_add_u32 s0, s22, s30
	s_mov_b32 s31, s30
	s_addc_u32 s1, s23, s30
	s_xor_b64 s[34:35], s[0:1], s[30:31]
	v_readfirstlane_b32 s9, v2
	s_mul_i32 s1, s34, s6
	s_mul_hi_u32 s12, s34, s9
	s_mul_hi_u32 s0, s34, s6
	s_add_u32 s1, s12, s1
	s_addc_u32 s0, 0, s0
	s_mul_hi_u32 s21, s35, s9
	s_mul_i32 s9, s35, s9
	s_add_u32 s1, s1, s9
	s_mul_hi_u32 s12, s35, s6
	s_addc_u32 s0, s0, s21
	s_addc_u32 s1, s12, 0
	s_mul_i32 s6, s35, s6
	s_add_u32 s6, s0, s6
	s_addc_u32 s0, 0, s1
	s_mul_i32 s0, s28, s0
	s_mul_hi_u32 s1, s28, s6
	s_add_i32 s0, s1, s0
	s_mul_i32 s1, s29, s6
	s_add_i32 s9, s0, s1
	s_mul_i32 s1, s28, s6
	v_mov_b32_e32 v2, s1
	s_sub_i32 s0, s35, s9
	v_sub_co_u32_e32 v2, vcc, s34, v2
	s_cmp_lg_u64 vcc, 0
	s_subb_u32 s12, s0, s29
	v_subrev_co_u32_e64 v3, s[0:1], s28, v2
	s_cmp_lg_u64 s[0:1], 0
	s_subb_u32 s12, s12, 0
	s_cmp_ge_u32 s12, s29
	s_cselect_b32 s21, -1, 0
	v_cmp_le_u32_e64 s[0:1], s28, v3
	s_cmp_eq_u32 s12, s29
	v_cndmask_b32_e64 v3, 0, -1, s[0:1]
	v_mov_b32_e32 v4, s21
	s_cselect_b64 s[0:1], -1, 0
	v_cndmask_b32_e64 v3, v4, v3, s[0:1]
	s_add_u32 s0, s6, 1
	s_add_u32 s1, s6, 2
	v_mov_b32_e32 v4, s0
	v_mov_b32_e32 v5, s1
	v_cmp_ne_u32_e64 s[0:1], 0, v3
	s_cmp_lg_u64 vcc, 0
	v_cndmask_b32_e64 v3, v4, v5, s[0:1]
	s_subb_u32 s0, s35, s9
	s_cmp_ge_u32 s0, s29
	s_cselect_b32 s1, -1, 0
	v_cmp_le_u32_e32 vcc, s28, v2
	s_cmp_eq_u32 s0, s29
	v_cndmask_b32_e64 v2, 0, -1, vcc
	v_mov_b32_e32 v4, s1
	s_cselect_b64 vcc, -1, 0
	v_cndmask_b32_e32 v2, v4, v2, vcc
	v_mov_b32_e32 v4, s6
	v_cmp_ne_u32_e32 vcc, 0, v2
	v_cndmask_b32_e32 v2, v4, v3, vcc
	s_xor_b64 s[0:1], s[30:31], s[26:27]
	v_xor_b32_e32 v2, s0, v2
	v_subrev_co_u32_e32 v4, vcc, s0, v2
	s_load_dword s0, s[4:5], 0x3c
	s_cbranch_execnz .LBB9_9
.LBB9_8:
	v_rcp_iflag_f32_e32 v1, v1
	s_sub_i32 s1, 0, s10
	v_mul_f32_e32 v1, 0x4f7ffffe, v1
	v_cvt_u32_f32_e32 v1, v1
	v_mul_lo_u32 v2, s1, v1
	v_mul_hi_u32 v2, v1, v2
	v_add_u32_e32 v1, v1, v2
	v_mul_hi_u32 v1, s22, v1
	v_mul_lo_u32 v3, v1, s10
	v_sub_u32_e32 v3, s22, v3
	v_add_u32_e32 v2, 1, v1
	v_subrev_u32_e32 v4, s10, v3
	v_cmp_le_u32_e32 vcc, s10, v3
	v_cndmask_b32_e32 v3, v3, v4, vcc
	v_cndmask_b32_e32 v1, v1, v2, vcc
	v_add_u32_e32 v2, 1, v1
	v_cmp_le_u32_e32 vcc, s10, v3
	v_cndmask_b32_e32 v4, v1, v2, vcc
.LBB9_9:
	s_waitcnt lgkmcnt(0)
	s_lshr_b32 s1, s0, 16
	s_mul_i32 s7, s7, s1
	v_bfe_u32 v1, v0, 10, 10
	v_add_u32_e32 v2, s7, v1
	v_cmp_gt_i32_e32 vcc, s13, v2
	s_and_saveexec_b64 s[6:7], vcc
	s_cbranch_execz .LBB9_84
; %bb.10:
	s_load_dword s6, s[4:5], 0x34
	s_load_dwordx4 s[24:27], s[4:5], 0x0
	s_mul_i32 s5, s14, s13
	s_mul_hi_i32 s4, s14, s13
	s_mul_i32 s3, s5, s3
	s_mul_hi_u32 s7, s5, s2
	s_add_i32 s3, s7, s3
	s_mul_i32 s4, s4, s2
	s_add_i32 s3, s3, s4
	s_mul_i32 s2, s5, s2
	s_ashr_i32 s12, s13, 31
	s_ashr_i32 s33, s14, 31
	s_lshl_b64 s[2:3], s[2:3], 2
	s_waitcnt lgkmcnt(0)
	s_add_u32 s55, s24, s2
	s_mul_i32 s2, s8, s15
	s_addc_u32 s56, s25, s3
	s_add_i32 s2, s2, s20
	s_mul_i32 s4, s17, s16
	s_mul_i32 s2, s4, s2
	s_ashr_i32 s3, s2, 31
	s_lshl_b64 s[2:3], s[2:3], 2
	s_add_u32 s22, s26, s2
	s_addc_u32 s23, s27, s3
	s_ashr_i32 s62, s13, 31
	s_add_i32 s2, s13, s62
	s_xor_b32 s63, s2, s62
	v_and_b32_e32 v39, 0x3ff, v0
	v_cvt_f32_u32_e32 v0, s63
	s_mov_b32 s21, s13
	v_cvt_f32_u32_e32 v3, s21
	s_ashr_i32 s5, s4, 31
	v_rcp_iflag_f32_e32 v1, v0
	s_lshl_b64 s[24:25], s[4:5], 2
	v_rcp_iflag_f32_e32 v3, v3
	s_sub_i32 s4, 0, s63
	v_mul_f32_e32 v1, 0x4f7ffffe, v1
	v_cvt_u32_f32_e32 v1, v1
	v_mul_f32_e32 v3, 0x4f7ffffe, v3
	v_cvt_u32_f32_e32 v3, v3
	v_add_u32_e32 v38, 1, v4
	v_mul_lo_u32 v4, s4, v1
	v_mul_hi_u32 v4, v1, v4
	s_sub_i32 s4, 0, s13
	v_add_u32_e32 v40, v1, v4
	v_mul_lo_u32 v1, s4, v3
	v_mul_hi_u32 v1, v3, v1
	s_mov_b32 s54, s14
	s_mul_i32 s15, s6, s1
	s_and_b32 s57, s0, 0xffff
	s_ashr_i32 s58, s16, 31
	s_mov_b32 s59, s16
	v_cmp_gt_i32_e64 s[0:1], s14, v39
	s_ashr_i32 s60, s17, 31
	s_mov_b32 s61, s17
	v_cmp_lt_i32_e64 s[2:3], s20, v38
	s_mov_b64 s[26:27], 0
	v_mov_b32_e32 v0, 0
	s_mov_b32 s28, 0
	v_add_u32_e32 v41, v3, v1
	s_branch .LBB9_12
.LBB9_11:                               ;   in Loop: Header=BB9_12 Depth=1
	s_or_b64 exec, exec, s[30:31]
	v_add_u32_e32 v2, s15, v2
	v_cmp_le_i32_e32 vcc, s13, v2
	s_or_b64 s[26:27], vcc, s[26:27]
	s_andn2_b64 exec, exec, s[26:27]
	s_cbranch_execz .LBB9_84
.LBB9_12:                               ; =>This Loop Header: Depth=1
                                        ;     Child Loop BB9_27 Depth 2
                                        ;       Child Loop BB9_42 Depth 3
                                        ;         Child Loop BB9_54 Depth 4
                                        ;           Child Loop BB9_69 Depth 5
	v_ashrrev_i32_e32 v3, 31, v2
	v_or_b32_e32 v1, s12, v3
	v_cmp_ne_u64_e32 vcc, 0, v[0:1]
                                        ; implicit-def: $vgpr6_vgpr7
	s_and_saveexec_b64 s[4:5], vcc
	s_xor_b64 s[4:5], exec, s[4:5]
	s_cbranch_execz .LBB9_14
; %bb.13:                               ;   in Loop: Header=BB9_12 Depth=1
	v_ashrrev_i32_e32 v1, 31, v2
	v_add_u32_e32 v4, v2, v1
	v_xor_b32_e32 v4, v4, v1
	v_mul_hi_u32 v5, v4, v40
	v_mul_lo_u32 v6, v5, s63
	v_sub_u32_e32 v4, v4, v6
	v_subrev_u32_e32 v6, s63, v4
	v_cmp_le_u32_e32 vcc, s63, v4
	v_cndmask_b32_e32 v4, v4, v6, vcc
	v_add_u32_e32 v6, 1, v5
	v_cndmask_b32_e32 v5, v5, v6, vcc
	v_add_u32_e32 v6, 1, v5
	v_cmp_le_u32_e32 vcc, s63, v4
	v_cndmask_b32_e32 v4, v5, v6, vcc
	v_xor_b32_e32 v1, s62, v1
	v_xor_b32_e32 v4, v4, v1
	v_sub_u32_e32 v6, v4, v1
	v_ashrrev_i32_e32 v7, 31, v6
.LBB9_14:                               ;   in Loop: Header=BB9_12 Depth=1
	s_andn2_saveexec_b64 s[4:5], s[4:5]
	s_cbranch_execz .LBB9_16
; %bb.15:                               ;   in Loop: Header=BB9_12 Depth=1
	v_mul_hi_u32 v1, v2, v41
	v_mul_lo_u32 v4, v1, s21
	v_sub_u32_e32 v4, v2, v4
	v_subrev_u32_e32 v5, s21, v4
	v_cmp_le_u32_e32 vcc, s21, v4
	v_cndmask_b32_e32 v4, v4, v5, vcc
	v_add_u32_e32 v5, 1, v1
	v_cndmask_b32_e32 v1, v1, v5, vcc
	v_add_u32_e32 v5, 1, v1
	v_cmp_le_u32_e32 vcc, s21, v4
	v_cndmask_b32_e32 v6, v1, v5, vcc
	v_mov_b32_e32 v7, v0
.LBB9_16:                               ;   in Loop: Header=BB9_12 Depth=1
	s_or_b64 exec, exec, s[4:5]
	v_mul_lo_u32 v1, v7, s21
	v_mul_lo_u32 v7, v6, s12
	v_mad_u64_u32 v[4:5], s[4:5], v6, s21, 0
	v_add3_u32 v1, v5, v7, v1
	v_sub_co_u32_e32 v4, vcc, v2, v4
	v_subb_co_u32_e32 v1, vcc, v3, v1, vcc
	v_mul_lo_u32 v1, v1, s59
	v_mul_lo_u32 v7, v4, s58
	v_mad_u64_u32 v[4:5], s[4:5], v4, s59, 0
	v_add3_u32 v5, v5, v7, v1
	v_or_b32_e32 v1, s12, v5
	v_cmp_ne_u64_e32 vcc, 0, v[0:1]
                                        ; implicit-def: $vgpr8_vgpr9
	s_and_saveexec_b64 s[4:5], vcc
	s_xor_b64 s[6:7], exec, s[4:5]
	s_cbranch_execz .LBB9_18
; %bb.17:                               ;   in Loop: Header=BB9_12 Depth=1
	s_add_u32 s4, s21, s12
	s_mov_b32 s8, s12
	s_mov_b32 s9, s12
	s_addc_u32 s5, s12, s12
	s_xor_b64 s[30:31], s[4:5], s[8:9]
	v_cvt_f32_u32_e32 v1, s30
	v_cvt_f32_u32_e32 v7, s31
	s_sub_u32 s4, 0, s30
	s_subb_u32 s5, 0, s31
	v_mac_f32_e32 v1, 0x4f800000, v7
	v_rcp_f32_e32 v1, v1
	v_mul_f32_e32 v1, 0x5f7ffffc, v1
	v_mul_f32_e32 v7, 0x2f800000, v1
	v_trunc_f32_e32 v7, v7
	v_mac_f32_e32 v1, 0xcf800000, v7
	v_cvt_u32_f32_e32 v7, v7
	v_cvt_u32_f32_e32 v1, v1
	v_mul_lo_u32 v8, s4, v7
	v_mul_hi_u32 v10, s4, v1
	v_mul_lo_u32 v9, s5, v1
	v_add_u32_e32 v8, v10, v8
	v_mul_lo_u32 v11, s4, v1
	v_add_u32_e32 v8, v8, v9
	v_mul_lo_u32 v10, v1, v8
	v_mul_hi_u32 v12, v1, v11
	v_mul_hi_u32 v9, v1, v8
	v_add_co_u32_e32 v10, vcc, v12, v10
	v_addc_co_u32_e32 v9, vcc, 0, v9, vcc
	v_mul_hi_u32 v13, v7, v11
	v_mul_lo_u32 v11, v7, v11
	v_add_co_u32_e32 v10, vcc, v10, v11
	v_mul_hi_u32 v12, v7, v8
	v_addc_co_u32_e32 v9, vcc, v9, v13, vcc
	v_addc_co_u32_e32 v10, vcc, 0, v12, vcc
	v_mul_lo_u32 v8, v7, v8
	v_add_co_u32_e32 v8, vcc, v9, v8
	v_addc_co_u32_e32 v9, vcc, 0, v10, vcc
	v_add_co_u32_e32 v1, vcc, v1, v8
	v_addc_co_u32_e32 v7, vcc, v7, v9, vcc
	v_mul_lo_u32 v8, s4, v7
	v_mul_hi_u32 v9, s4, v1
	v_add_u32_e32 v8, v9, v8
	v_mul_lo_u32 v9, s5, v1
	v_add_u32_e32 v8, v8, v9
	v_mul_lo_u32 v10, s4, v1
	v_mul_hi_u32 v11, v7, v10
	v_mul_lo_u32 v12, v7, v10
	v_mul_lo_u32 v14, v1, v8
	v_mul_hi_u32 v10, v1, v10
	v_mul_hi_u32 v13, v1, v8
	v_add_co_u32_e32 v10, vcc, v10, v14
	v_addc_co_u32_e32 v13, vcc, 0, v13, vcc
	v_add_co_u32_e32 v10, vcc, v10, v12
	v_mul_hi_u32 v9, v7, v8
	v_addc_co_u32_e32 v10, vcc, v13, v11, vcc
	v_addc_co_u32_e32 v9, vcc, 0, v9, vcc
	v_mul_lo_u32 v8, v7, v8
	v_add_co_u32_e32 v8, vcc, v10, v8
	v_addc_co_u32_e32 v9, vcc, 0, v9, vcc
	v_add_co_u32_e32 v1, vcc, v1, v8
	v_addc_co_u32_e32 v7, vcc, v7, v9, vcc
	v_ashrrev_i32_e32 v10, 31, v5
	v_add_co_u32_e32 v4, vcc, v4, v10
	v_addc_co_u32_e32 v5, vcc, v5, v10, vcc
	v_xor_b32_e32 v12, v4, v10
	v_xor_b32_e32 v11, v5, v10
	v_mad_u64_u32 v[4:5], s[4:5], v12, v7, 0
	v_mul_hi_u32 v8, v12, v1
	v_add_co_u32_e32 v13, vcc, v8, v4
	v_addc_co_u32_e32 v14, vcc, 0, v5, vcc
	v_mad_u64_u32 v[8:9], s[4:5], v11, v1, 0
	v_add_co_u32_e32 v1, vcc, v13, v8
	v_mad_u64_u32 v[4:5], s[4:5], v11, v7, 0
	v_addc_co_u32_e32 v1, vcc, v14, v9, vcc
	v_addc_co_u32_e32 v5, vcc, 0, v5, vcc
	v_add_co_u32_e32 v1, vcc, v1, v4
	v_addc_co_u32_e32 v4, vcc, 0, v5, vcc
	v_mul_lo_u32 v7, s31, v1
	v_mul_lo_u32 v8, s30, v4
	v_mad_u64_u32 v[4:5], s[4:5], s30, v1, 0
	v_add3_u32 v5, v5, v8, v7
	v_sub_u32_e32 v7, v11, v5
	v_mov_b32_e32 v8, s31
	v_sub_co_u32_e32 v4, vcc, v12, v4
	v_subb_co_u32_e64 v7, s[4:5], v7, v8, vcc
	v_subrev_co_u32_e64 v8, s[4:5], s30, v4
	v_subbrev_co_u32_e64 v7, s[4:5], 0, v7, s[4:5]
	v_cmp_le_u32_e64 s[4:5], s31, v7
	v_subb_co_u32_e32 v5, vcc, v11, v5, vcc
	v_cndmask_b32_e64 v9, 0, -1, s[4:5]
	v_cmp_le_u32_e64 s[4:5], s30, v8
	v_cmp_le_u32_e32 vcc, s31, v5
	v_cndmask_b32_e64 v8, 0, -1, s[4:5]
	v_cmp_eq_u32_e64 s[4:5], s31, v7
	v_cndmask_b32_e64 v11, 0, -1, vcc
	v_cmp_le_u32_e32 vcc, s30, v4
	v_cndmask_b32_e64 v7, v9, v8, s[4:5]
	v_cndmask_b32_e64 v4, 0, -1, vcc
	v_cmp_eq_u32_e32 vcc, s31, v5
	v_add_co_u32_e64 v8, s[4:5], 2, v1
	v_add_co_u32_e64 v9, s[4:5], 1, v1
	v_cndmask_b32_e32 v4, v11, v4, vcc
	v_cmp_ne_u32_e32 vcc, 0, v7
	v_cndmask_b32_e32 v5, v9, v8, vcc
	v_cmp_ne_u32_e32 vcc, 0, v4
	v_cndmask_b32_e32 v1, v1, v5, vcc
	v_xor_b32_e32 v4, s8, v10
	v_xor_b32_e32 v1, v1, v4
	v_sub_co_u32_e32 v8, vcc, v1, v4
                                        ; implicit-def: $vgpr4_vgpr5
.LBB9_18:                               ;   in Loop: Header=BB9_12 Depth=1
	s_andn2_saveexec_b64 s[4:5], s[6:7]
; %bb.19:                               ;   in Loop: Header=BB9_12 Depth=1
	v_mul_hi_u32 v1, v4, v41
	v_mul_lo_u32 v5, v1, s21
	v_sub_u32_e32 v4, v4, v5
	v_subrev_u32_e32 v5, s21, v4
	v_cmp_le_u32_e32 vcc, s21, v4
	v_cndmask_b32_e32 v4, v4, v5, vcc
	v_add_u32_e32 v5, 1, v1
	v_cndmask_b32_e32 v1, v1, v5, vcc
	v_add_u32_e32 v5, 1, v1
	v_cmp_le_u32_e32 vcc, s21, v4
	v_cndmask_b32_e32 v8, v1, v5, vcc
; %bb.20:                               ;   in Loop: Header=BB9_12 Depth=1
	s_or_b64 exec, exec, s[4:5]
	v_add_co_u32_e32 v1, vcc, 1, v2
	v_addc_co_u32_e32 v3, vcc, 0, v3, vcc
	v_mul_lo_u32 v7, v1, s58
	v_mul_lo_u32 v3, v3, s59
	v_mad_u64_u32 v[4:5], s[4:5], v1, s59, -1
	v_add3_u32 v5, v3, v5, v7
	v_or_b32_e32 v1, s12, v5
	v_cmp_ne_u64_e32 vcc, 0, v[0:1]
                                        ; implicit-def: $vgpr10_vgpr11
	s_and_saveexec_b64 s[4:5], vcc
	s_xor_b64 s[6:7], exec, s[4:5]
	s_cbranch_execnz .LBB9_23
; %bb.21:                               ;   in Loop: Header=BB9_12 Depth=1
	s_andn2_saveexec_b64 s[4:5], s[6:7]
	s_cbranch_execnz .LBB9_24
.LBB9_22:                               ;   in Loop: Header=BB9_12 Depth=1
	s_or_b64 exec, exec, s[4:5]
	s_and_saveexec_b64 s[30:31], s[0:1]
	s_cbranch_execz .LBB9_11
	s_branch .LBB9_25
.LBB9_23:                               ;   in Loop: Header=BB9_12 Depth=1
	s_add_u32 s4, s21, s12
	s_mov_b32 s8, s12
	s_mov_b32 s9, s12
	s_addc_u32 s5, s12, s12
	s_xor_b64 s[30:31], s[4:5], s[8:9]
	v_cvt_f32_u32_e32 v1, s30
	v_cvt_f32_u32_e32 v3, s31
	s_sub_u32 s4, 0, s30
	s_subb_u32 s5, 0, s31
	v_mac_f32_e32 v1, 0x4f800000, v3
	v_rcp_f32_e32 v1, v1
	v_mul_f32_e32 v1, 0x5f7ffffc, v1
	v_mul_f32_e32 v3, 0x2f800000, v1
	v_trunc_f32_e32 v3, v3
	v_mac_f32_e32 v1, 0xcf800000, v3
	v_cvt_u32_f32_e32 v3, v3
	v_cvt_u32_f32_e32 v1, v1
	v_mul_lo_u32 v7, s4, v3
	v_mul_hi_u32 v10, s4, v1
	v_mul_lo_u32 v9, s5, v1
	v_add_u32_e32 v7, v10, v7
	v_mul_lo_u32 v11, s4, v1
	v_add_u32_e32 v7, v7, v9
	v_mul_lo_u32 v10, v1, v7
	v_mul_hi_u32 v12, v1, v11
	v_mul_hi_u32 v9, v1, v7
	v_add_co_u32_e32 v10, vcc, v12, v10
	v_addc_co_u32_e32 v9, vcc, 0, v9, vcc
	v_mul_hi_u32 v13, v3, v11
	v_mul_lo_u32 v11, v3, v11
	v_add_co_u32_e32 v10, vcc, v10, v11
	v_mul_hi_u32 v12, v3, v7
	v_addc_co_u32_e32 v9, vcc, v9, v13, vcc
	v_addc_co_u32_e32 v10, vcc, 0, v12, vcc
	v_mul_lo_u32 v7, v3, v7
	v_add_co_u32_e32 v7, vcc, v9, v7
	v_addc_co_u32_e32 v9, vcc, 0, v10, vcc
	v_add_co_u32_e32 v1, vcc, v1, v7
	v_addc_co_u32_e32 v3, vcc, v3, v9, vcc
	v_mul_lo_u32 v7, s4, v3
	v_mul_hi_u32 v9, s4, v1
	v_add_u32_e32 v7, v9, v7
	v_mul_lo_u32 v9, s5, v1
	v_add_u32_e32 v7, v7, v9
	v_mul_lo_u32 v10, s4, v1
	v_mul_hi_u32 v11, v3, v10
	v_mul_lo_u32 v12, v3, v10
	v_mul_lo_u32 v14, v1, v7
	v_mul_hi_u32 v10, v1, v10
	v_mul_hi_u32 v13, v1, v7
	v_add_co_u32_e32 v10, vcc, v10, v14
	v_addc_co_u32_e32 v13, vcc, 0, v13, vcc
	v_add_co_u32_e32 v10, vcc, v10, v12
	v_mul_hi_u32 v9, v3, v7
	v_addc_co_u32_e32 v10, vcc, v13, v11, vcc
	v_addc_co_u32_e32 v9, vcc, 0, v9, vcc
	v_mul_lo_u32 v7, v3, v7
	v_add_co_u32_e32 v7, vcc, v10, v7
	v_addc_co_u32_e32 v9, vcc, 0, v9, vcc
	v_add_co_u32_e32 v1, vcc, v1, v7
	v_addc_co_u32_e32 v3, vcc, v3, v9, vcc
	v_ashrrev_i32_e32 v7, 31, v5
	v_add_co_u32_e32 v4, vcc, v4, v7
	v_addc_co_u32_e32 v5, vcc, v5, v7, vcc
	v_xor_b32_e32 v12, v4, v7
	v_xor_b32_e32 v9, v5, v7
	v_mad_u64_u32 v[4:5], s[4:5], v12, v3, 0
	v_mul_hi_u32 v10, v12, v1
	v_add_co_u32_e32 v13, vcc, v10, v4
	v_addc_co_u32_e32 v14, vcc, 0, v5, vcc
	v_mad_u64_u32 v[10:11], s[4:5], v9, v1, 0
	v_add_co_u32_e32 v1, vcc, v13, v10
	v_mad_u64_u32 v[4:5], s[4:5], v9, v3, 0
	v_addc_co_u32_e32 v1, vcc, v14, v11, vcc
	v_addc_co_u32_e32 v3, vcc, 0, v5, vcc
	v_add_co_u32_e32 v1, vcc, v1, v4
	v_addc_co_u32_e32 v3, vcc, 0, v3, vcc
	v_mul_lo_u32 v10, s31, v1
	v_mul_lo_u32 v3, s30, v3
	v_mad_u64_u32 v[4:5], s[4:5], s30, v1, 0
	v_add3_u32 v3, v5, v3, v10
	v_sub_u32_e32 v5, v9, v3
	v_mov_b32_e32 v10, s31
	v_sub_co_u32_e32 v4, vcc, v12, v4
	v_subb_co_u32_e64 v5, s[4:5], v5, v10, vcc
	v_subrev_co_u32_e64 v10, s[4:5], s30, v4
	v_subbrev_co_u32_e64 v5, s[4:5], 0, v5, s[4:5]
	v_cmp_le_u32_e64 s[4:5], s31, v5
	v_subb_co_u32_e32 v3, vcc, v9, v3, vcc
	v_cndmask_b32_e64 v11, 0, -1, s[4:5]
	v_cmp_le_u32_e64 s[4:5], s30, v10
	v_cmp_le_u32_e32 vcc, s31, v3
	v_cndmask_b32_e64 v10, 0, -1, s[4:5]
	v_cmp_eq_u32_e64 s[4:5], s31, v5
	v_cndmask_b32_e64 v9, 0, -1, vcc
	v_cmp_le_u32_e32 vcc, s30, v4
	v_cndmask_b32_e64 v5, v11, v10, s[4:5]
	v_cndmask_b32_e64 v4, 0, -1, vcc
	v_cmp_eq_u32_e32 vcc, s31, v3
	v_add_co_u32_e64 v10, s[4:5], 2, v1
	v_add_co_u32_e64 v11, s[4:5], 1, v1
	v_cndmask_b32_e32 v3, v9, v4, vcc
	v_cmp_ne_u32_e32 vcc, 0, v5
	v_cndmask_b32_e32 v4, v11, v10, vcc
	v_cmp_ne_u32_e32 vcc, 0, v3
	v_cndmask_b32_e32 v1, v1, v4, vcc
	v_xor_b32_e32 v3, s8, v7
	v_xor_b32_e32 v1, v1, v3
	v_sub_co_u32_e32 v10, vcc, v1, v3
                                        ; implicit-def: $vgpr4_vgpr5
	s_andn2_saveexec_b64 s[4:5], s[6:7]
	s_cbranch_execz .LBB9_22
.LBB9_24:                               ;   in Loop: Header=BB9_12 Depth=1
	v_mul_hi_u32 v1, v4, v41
	v_mul_lo_u32 v3, v1, s21
	v_sub_u32_e32 v3, v4, v3
	v_subrev_u32_e32 v4, s21, v3
	v_cmp_le_u32_e32 vcc, s21, v3
	v_cndmask_b32_e32 v3, v3, v4, vcc
	v_add_u32_e32 v4, 1, v1
	v_cndmask_b32_e32 v1, v1, v4, vcc
	v_add_u32_e32 v4, 1, v1
	v_cmp_le_u32_e32 vcc, s21, v3
	v_cndmask_b32_e32 v10, v1, v4, vcc
	s_or_b64 exec, exec, s[4:5]
	s_and_saveexec_b64 s[30:31], s[0:1]
	s_cbranch_execz .LBB9_11
.LBB9_25:                               ;   in Loop: Header=BB9_12 Depth=1
	v_add_u32_e32 v42, 1, v10
	v_mul_lo_u32 v10, v2, s14
	v_ashrrev_i32_e32 v11, 31, v10
	v_mad_u64_u32 v[4:5], s[4:5], v6, s59, v[8:9]
	v_lshlrev_b64 v[10:11], 2, v[10:11]
	v_mov_b32_e32 v1, s56
	v_add_co_u32_e32 v5, vcc, s55, v10
	v_addc_co_u32_e32 v43, vcc, v1, v11, vcc
	v_cmp_gt_i32_e64 s[4:5], v42, v4
	v_mad_u64_u32 v[6:7], s[6:7], s16, v6, v[8:9]
	s_mov_b64 s[34:35], 0
	v_mov_b32_e32 v8, v39
	s_branch .LBB9_27
.LBB9_26:                               ;   in Loop: Header=BB9_27 Depth=2
	v_add_u32_e32 v8, s57, v8
	v_cmp_le_i32_e32 vcc, s14, v8
	s_or_b64 s[34:35], vcc, s[34:35]
	s_andn2_b64 exec, exec, s[34:35]
	s_cbranch_execz .LBB9_11
.LBB9_27:                               ;   Parent Loop BB9_12 Depth=1
                                        ; =>  This Loop Header: Depth=2
                                        ;       Child Loop BB9_42 Depth 3
                                        ;         Child Loop BB9_54 Depth 4
                                        ;           Child Loop BB9_69 Depth 5
	v_or_b32_e64 v1, 0, s33
	v_mov_b32_e32 v9, v0
	v_cmp_ne_u64_e32 vcc, 0, v[0:1]
                                        ; implicit-def: $vgpr14_vgpr15
	s_and_saveexec_b64 s[6:7], vcc
	s_xor_b64 s[8:9], exec, s[6:7]
	s_cbranch_execz .LBB9_29
; %bb.28:                               ;   in Loop: Header=BB9_27 Depth=2
	s_add_u32 s6, s54, s33
	s_mov_b32 s36, s33
	s_mov_b32 s37, s33
	s_addc_u32 s7, s33, s33
	s_xor_b64 s[38:39], s[6:7], s[36:37]
	v_cvt_f32_u32_e32 v1, s38
	v_cvt_f32_u32_e32 v3, s39
	s_sub_u32 s6, 0, s38
	s_subb_u32 s7, 0, s39
	v_mac_f32_e32 v1, 0x4f800000, v3
	v_rcp_f32_e32 v1, v1
	v_mul_f32_e32 v1, 0x5f7ffffc, v1
	v_mul_f32_e32 v3, 0x2f800000, v1
	v_trunc_f32_e32 v3, v3
	v_mac_f32_e32 v1, 0xcf800000, v3
	v_cvt_u32_f32_e32 v3, v3
	v_cvt_u32_f32_e32 v1, v1
	v_mul_lo_u32 v7, s6, v3
	v_mul_hi_u32 v11, s6, v1
	v_mul_lo_u32 v10, s7, v1
	v_add_u32_e32 v7, v11, v7
	v_mul_lo_u32 v12, s6, v1
	v_add_u32_e32 v7, v7, v10
	v_mul_lo_u32 v11, v1, v7
	v_mul_hi_u32 v13, v1, v12
	v_mul_hi_u32 v10, v1, v7
	v_add_co_u32_e32 v11, vcc, v13, v11
	v_addc_co_u32_e32 v10, vcc, 0, v10, vcc
	v_mul_hi_u32 v14, v3, v12
	v_mul_lo_u32 v12, v3, v12
	v_add_co_u32_e32 v11, vcc, v11, v12
	v_mul_hi_u32 v13, v3, v7
	v_addc_co_u32_e32 v10, vcc, v10, v14, vcc
	v_addc_co_u32_e32 v11, vcc, 0, v13, vcc
	v_mul_lo_u32 v7, v3, v7
	v_add_co_u32_e32 v7, vcc, v10, v7
	v_addc_co_u32_e32 v10, vcc, 0, v11, vcc
	v_add_co_u32_e32 v1, vcc, v1, v7
	v_addc_co_u32_e32 v3, vcc, v3, v10, vcc
	v_mul_lo_u32 v7, s6, v3
	v_mul_hi_u32 v10, s6, v1
	v_add_u32_e32 v7, v10, v7
	v_mul_lo_u32 v10, s7, v1
	v_add_u32_e32 v7, v7, v10
	v_mul_lo_u32 v11, s6, v1
	v_mul_hi_u32 v12, v3, v11
	v_mul_lo_u32 v13, v3, v11
	v_mul_lo_u32 v15, v1, v7
	v_mul_hi_u32 v11, v1, v11
	v_mul_hi_u32 v14, v1, v7
	v_add_co_u32_e32 v11, vcc, v11, v15
	v_addc_co_u32_e32 v14, vcc, 0, v14, vcc
	v_add_co_u32_e32 v11, vcc, v11, v13
	v_mul_hi_u32 v10, v3, v7
	v_addc_co_u32_e32 v11, vcc, v14, v12, vcc
	v_addc_co_u32_e32 v10, vcc, 0, v10, vcc
	v_mul_lo_u32 v7, v3, v7
	v_add_co_u32_e32 v7, vcc, v11, v7
	v_addc_co_u32_e32 v10, vcc, 0, v10, vcc
	v_add_co_u32_e32 v1, vcc, v1, v7
	v_addc_co_u32_e32 v3, vcc, v3, v10, vcc
	v_ashrrev_i32_e64 v7, 31, 0
	v_add_co_u32_e32 v10, vcc, v8, v7
	v_addc_co_u32_e32 v11, vcc, 0, v7, vcc
	v_xor_b32_e32 v15, v10, v7
	v_xor_b32_e32 v14, v11, v7
	v_mad_u64_u32 v[10:11], s[6:7], v15, v3, 0
	v_mul_hi_u32 v12, v15, v1
	v_add_co_u32_e32 v16, vcc, v12, v10
	v_addc_co_u32_e32 v17, vcc, 0, v11, vcc
	v_mad_u64_u32 v[12:13], s[6:7], v14, v1, 0
	v_add_co_u32_e32 v1, vcc, v16, v12
	v_mad_u64_u32 v[10:11], s[6:7], v14, v3, 0
	v_addc_co_u32_e32 v1, vcc, v17, v13, vcc
	v_addc_co_u32_e32 v3, vcc, 0, v11, vcc
	v_add_co_u32_e32 v1, vcc, v1, v10
	v_addc_co_u32_e32 v3, vcc, 0, v3, vcc
	v_mul_lo_u32 v12, s39, v1
	v_mul_lo_u32 v13, s38, v3
	v_mad_u64_u32 v[10:11], s[6:7], s38, v1, 0
	v_add3_u32 v11, v11, v13, v12
	v_sub_u32_e32 v12, v14, v11
	v_mov_b32_e32 v13, s39
	v_sub_co_u32_e32 v10, vcc, v15, v10
	v_subb_co_u32_e64 v12, s[6:7], v12, v13, vcc
	v_subrev_co_u32_e64 v13, s[6:7], s38, v10
	v_subbrev_co_u32_e64 v12, s[6:7], 0, v12, s[6:7]
	v_cmp_le_u32_e64 s[6:7], s39, v12
	v_cndmask_b32_e64 v15, 0, -1, s[6:7]
	v_cmp_le_u32_e64 s[6:7], s38, v13
	v_cndmask_b32_e64 v13, 0, -1, s[6:7]
	v_cmp_eq_u32_e64 s[6:7], s39, v12
	v_cndmask_b32_e64 v12, v15, v13, s[6:7]
	v_add_co_u32_e64 v13, s[6:7], 2, v1
	v_subb_co_u32_e32 v11, vcc, v14, v11, vcc
	v_addc_co_u32_e64 v15, s[6:7], 0, v3, s[6:7]
	v_cmp_le_u32_e32 vcc, s39, v11
	v_add_co_u32_e64 v16, s[6:7], 1, v1
	v_cndmask_b32_e64 v14, 0, -1, vcc
	v_cmp_le_u32_e32 vcc, s38, v10
	v_addc_co_u32_e64 v17, s[6:7], 0, v3, s[6:7]
	v_cndmask_b32_e64 v10, 0, -1, vcc
	v_cmp_eq_u32_e32 vcc, s39, v11
	v_cmp_ne_u32_e64 s[6:7], 0, v12
	v_cndmask_b32_e32 v10, v14, v10, vcc
	v_cmp_ne_u32_e32 vcc, 0, v10
	v_cndmask_b32_e64 v10, v16, v13, s[6:7]
	v_cndmask_b32_e64 v12, v17, v15, s[6:7]
	v_cndmask_b32_e32 v1, v1, v10, vcc
	v_xor_b32_e32 v10, s37, v7
	v_xor_b32_e32 v7, s36, v7
	v_cndmask_b32_e32 v3, v3, v12, vcc
	v_xor_b32_e32 v1, v1, v7
	v_xor_b32_e32 v3, v3, v10
	v_sub_co_u32_e32 v14, vcc, v1, v7
	v_subb_co_u32_e32 v15, vcc, v3, v10, vcc
.LBB9_29:                               ;   in Loop: Header=BB9_27 Depth=2
	s_or_saveexec_b64 s[6:7], s[8:9]
	v_cvt_f32_u32_e32 v3, s54
	s_xor_b64 exec, exec, s[6:7]
	s_cbranch_execz .LBB9_31
; %bb.30:                               ;   in Loop: Header=BB9_27 Depth=2
	v_rcp_iflag_f32_e32 v1, v3
	s_sub_i32 s8, 0, s54
	v_mov_b32_e32 v15, v0
	v_mul_f32_e32 v1, 0x4f7ffffe, v1
	v_cvt_u32_f32_e32 v1, v1
	v_mul_lo_u32 v7, s8, v1
	v_mul_hi_u32 v7, v1, v7
	v_add_u32_e32 v1, v1, v7
	v_mul_hi_u32 v1, v8, v1
	v_mul_lo_u32 v7, v1, s54
	v_sub_u32_e32 v7, v8, v7
	v_add_u32_e32 v10, 1, v1
	v_subrev_u32_e32 v11, s54, v7
	v_cmp_le_u32_e32 vcc, s54, v7
	v_cndmask_b32_e32 v7, v7, v11, vcc
	v_cndmask_b32_e32 v1, v1, v10, vcc
	v_add_u32_e32 v10, 1, v1
	v_cmp_le_u32_e32 vcc, s54, v7
	v_cndmask_b32_e32 v14, v1, v10, vcc
.LBB9_31:                               ;   in Loop: Header=BB9_27 Depth=2
	s_or_b64 exec, exec, s[6:7]
	v_mul_lo_u32 v1, v15, s54
	v_mul_lo_u32 v7, v14, s33
	v_mad_u64_u32 v[10:11], s[6:7], v14, s54, 0
	v_add3_u32 v1, v11, v7, v1
	v_sub_co_u32_e32 v7, vcc, v8, v10
	v_subb_co_u32_e32 v1, vcc, 0, v1, vcc
	v_mul_lo_u32 v1, v1, s61
	v_mul_lo_u32 v12, v7, s60
	v_mad_u64_u32 v[10:11], s[6:7], v7, s61, 0
	v_add3_u32 v11, v11, v12, v1
	v_or_b32_e32 v1, s33, v11
	v_cmp_ne_u64_e32 vcc, 0, v[0:1]
                                        ; implicit-def: $vgpr16_vgpr17
	s_and_saveexec_b64 s[6:7], vcc
	s_xor_b64 s[8:9], exec, s[6:7]
	s_cbranch_execz .LBB9_33
; %bb.32:                               ;   in Loop: Header=BB9_27 Depth=2
	s_add_u32 s6, s54, s33
	s_mov_b32 s36, s33
	s_mov_b32 s37, s33
	s_addc_u32 s7, s33, s33
	s_xor_b64 s[38:39], s[6:7], s[36:37]
	v_cvt_f32_u32_e32 v1, s38
	v_cvt_f32_u32_e32 v7, s39
	s_sub_u32 s6, 0, s38
	s_subb_u32 s7, 0, s39
	v_mac_f32_e32 v1, 0x4f800000, v7
	v_rcp_f32_e32 v1, v1
	v_mul_f32_e32 v1, 0x5f7ffffc, v1
	v_mul_f32_e32 v7, 0x2f800000, v1
	v_trunc_f32_e32 v7, v7
	v_mac_f32_e32 v1, 0xcf800000, v7
	v_cvt_u32_f32_e32 v7, v7
	v_cvt_u32_f32_e32 v1, v1
	v_mul_lo_u32 v12, s6, v7
	v_mul_hi_u32 v15, s6, v1
	v_mul_lo_u32 v13, s7, v1
	v_add_u32_e32 v12, v15, v12
	v_mul_lo_u32 v16, s6, v1
	v_add_u32_e32 v12, v12, v13
	v_mul_lo_u32 v15, v1, v12
	v_mul_hi_u32 v17, v1, v16
	v_mul_hi_u32 v13, v1, v12
	v_add_co_u32_e32 v15, vcc, v17, v15
	v_addc_co_u32_e32 v13, vcc, 0, v13, vcc
	v_mul_hi_u32 v18, v7, v16
	v_mul_lo_u32 v16, v7, v16
	v_add_co_u32_e32 v15, vcc, v15, v16
	v_mul_hi_u32 v17, v7, v12
	v_addc_co_u32_e32 v13, vcc, v13, v18, vcc
	v_addc_co_u32_e32 v15, vcc, 0, v17, vcc
	v_mul_lo_u32 v12, v7, v12
	v_add_co_u32_e32 v12, vcc, v13, v12
	v_addc_co_u32_e32 v13, vcc, 0, v15, vcc
	v_add_co_u32_e32 v1, vcc, v1, v12
	v_addc_co_u32_e32 v7, vcc, v7, v13, vcc
	v_mul_lo_u32 v12, s6, v7
	v_mul_hi_u32 v13, s6, v1
	v_add_u32_e32 v12, v13, v12
	v_mul_lo_u32 v13, s7, v1
	v_add_u32_e32 v12, v12, v13
	v_mul_lo_u32 v15, s6, v1
	v_mul_hi_u32 v16, v7, v15
	v_mul_lo_u32 v17, v7, v15
	v_mul_lo_u32 v19, v1, v12
	v_mul_hi_u32 v15, v1, v15
	v_mul_hi_u32 v18, v1, v12
	v_add_co_u32_e32 v15, vcc, v15, v19
	v_addc_co_u32_e32 v18, vcc, 0, v18, vcc
	v_add_co_u32_e32 v15, vcc, v15, v17
	v_mul_hi_u32 v13, v7, v12
	v_addc_co_u32_e32 v15, vcc, v18, v16, vcc
	v_addc_co_u32_e32 v13, vcc, 0, v13, vcc
	v_mul_lo_u32 v12, v7, v12
	v_add_co_u32_e32 v12, vcc, v15, v12
	v_addc_co_u32_e32 v13, vcc, 0, v13, vcc
	v_add_co_u32_e32 v1, vcc, v1, v12
	v_addc_co_u32_e32 v7, vcc, v7, v13, vcc
	v_ashrrev_i32_e32 v15, 31, v11
	v_add_co_u32_e32 v10, vcc, v10, v15
	v_addc_co_u32_e32 v11, vcc, v11, v15, vcc
	v_xor_b32_e32 v17, v10, v15
	v_xor_b32_e32 v16, v11, v15
	v_mad_u64_u32 v[10:11], s[6:7], v17, v7, 0
	v_mul_hi_u32 v12, v17, v1
	v_add_co_u32_e32 v18, vcc, v12, v10
	v_addc_co_u32_e32 v19, vcc, 0, v11, vcc
	v_mad_u64_u32 v[12:13], s[6:7], v16, v1, 0
	v_add_co_u32_e32 v1, vcc, v18, v12
	v_mad_u64_u32 v[10:11], s[6:7], v16, v7, 0
	v_addc_co_u32_e32 v1, vcc, v19, v13, vcc
	v_addc_co_u32_e32 v7, vcc, 0, v11, vcc
	v_add_co_u32_e32 v1, vcc, v1, v10
	v_addc_co_u32_e32 v7, vcc, 0, v7, vcc
	v_mul_lo_u32 v12, s39, v1
	v_mul_lo_u32 v7, s38, v7
	v_mad_u64_u32 v[10:11], s[6:7], s38, v1, 0
	v_add3_u32 v7, v11, v7, v12
	v_sub_u32_e32 v11, v16, v7
	v_mov_b32_e32 v12, s39
	v_sub_co_u32_e32 v10, vcc, v17, v10
	v_subb_co_u32_e64 v11, s[6:7], v11, v12, vcc
	v_subrev_co_u32_e64 v12, s[6:7], s38, v10
	v_subbrev_co_u32_e64 v11, s[6:7], 0, v11, s[6:7]
	v_cmp_le_u32_e64 s[6:7], s39, v11
	v_subb_co_u32_e32 v7, vcc, v16, v7, vcc
	v_cndmask_b32_e64 v13, 0, -1, s[6:7]
	v_cmp_le_u32_e64 s[6:7], s38, v12
	v_cmp_le_u32_e32 vcc, s39, v7
	v_cndmask_b32_e64 v12, 0, -1, s[6:7]
	v_cmp_eq_u32_e64 s[6:7], s39, v11
	v_cndmask_b32_e64 v16, 0, -1, vcc
	v_cmp_le_u32_e32 vcc, s38, v10
	v_cndmask_b32_e64 v11, v13, v12, s[6:7]
	v_cndmask_b32_e64 v10, 0, -1, vcc
	v_cmp_eq_u32_e32 vcc, s39, v7
	v_add_co_u32_e64 v12, s[6:7], 2, v1
	v_add_co_u32_e64 v13, s[6:7], 1, v1
	v_cndmask_b32_e32 v7, v16, v10, vcc
	v_cmp_ne_u32_e32 vcc, 0, v11
	v_cndmask_b32_e32 v10, v13, v12, vcc
	v_cmp_ne_u32_e32 vcc, 0, v7
	v_cndmask_b32_e32 v1, v1, v10, vcc
	v_xor_b32_e32 v7, s36, v15
	v_xor_b32_e32 v1, v1, v7
	v_sub_co_u32_e32 v16, vcc, v1, v7
                                        ; implicit-def: $vgpr10_vgpr11
.LBB9_33:                               ;   in Loop: Header=BB9_27 Depth=2
	s_andn2_saveexec_b64 s[6:7], s[8:9]
	s_cbranch_execz .LBB9_35
; %bb.34:                               ;   in Loop: Header=BB9_27 Depth=2
	v_rcp_iflag_f32_e32 v1, v3
	s_sub_i32 s8, 0, s54
	v_mul_f32_e32 v1, 0x4f7ffffe, v1
	v_cvt_u32_f32_e32 v1, v1
	v_mul_lo_u32 v7, s8, v1
	v_mul_hi_u32 v7, v1, v7
	v_add_u32_e32 v1, v1, v7
	v_mul_hi_u32 v1, v10, v1
	v_mul_lo_u32 v7, v1, s54
	v_sub_u32_e32 v7, v10, v7
	v_add_u32_e32 v11, 1, v1
	v_subrev_u32_e32 v10, s54, v7
	v_cmp_le_u32_e32 vcc, s54, v7
	v_cndmask_b32_e32 v7, v7, v10, vcc
	v_cndmask_b32_e32 v1, v1, v11, vcc
	v_add_u32_e32 v10, 1, v1
	v_cmp_le_u32_e32 vcc, s54, v7
	v_cndmask_b32_e32 v16, v1, v10, vcc
.LBB9_35:                               ;   in Loop: Header=BB9_27 Depth=2
	s_or_b64 exec, exec, s[6:7]
	v_add_co_u32_e32 v1, vcc, 1, v8
	v_addc_co_u32_e64 v7, s[6:7], 0, 0, vcc
	v_mul_lo_u32 v12, v1, s60
	v_mul_lo_u32 v7, v7, s61
	v_mad_u64_u32 v[10:11], s[6:7], v1, s61, -1
	v_add3_u32 v11, v7, v11, v12
	v_or_b32_e32 v1, s33, v11
	v_cmp_ne_u64_e32 vcc, 0, v[0:1]
                                        ; implicit-def: $vgpr12_vgpr13
	s_and_saveexec_b64 s[6:7], vcc
	s_xor_b64 s[8:9], exec, s[6:7]
	s_cbranch_execnz .LBB9_38
; %bb.36:                               ;   in Loop: Header=BB9_27 Depth=2
	s_andn2_saveexec_b64 s[6:7], s[8:9]
	s_cbranch_execnz .LBB9_39
.LBB9_37:                               ;   in Loop: Header=BB9_27 Depth=2
	s_or_b64 exec, exec, s[6:7]
	s_andn2_b64 vcc, exec, s[2:3]
	s_cbranch_vccnz .LBB9_26
	s_branch .LBB9_40
.LBB9_38:                               ;   in Loop: Header=BB9_27 Depth=2
	s_add_u32 s6, s54, s33
	s_mov_b32 s36, s33
	s_mov_b32 s37, s33
	s_addc_u32 s7, s33, s33
	s_xor_b64 s[38:39], s[6:7], s[36:37]
	v_cvt_f32_u32_e32 v1, s38
	v_cvt_f32_u32_e32 v3, s39
	s_sub_u32 s6, 0, s38
	s_subb_u32 s7, 0, s39
	v_mac_f32_e32 v1, 0x4f800000, v3
	v_rcp_f32_e32 v1, v1
	v_mul_f32_e32 v1, 0x5f7ffffc, v1
	v_mul_f32_e32 v3, 0x2f800000, v1
	v_trunc_f32_e32 v3, v3
	v_mac_f32_e32 v1, 0xcf800000, v3
	v_cvt_u32_f32_e32 v3, v3
	v_cvt_u32_f32_e32 v1, v1
	v_mul_lo_u32 v7, s6, v3
	v_mul_hi_u32 v13, s6, v1
	v_mul_lo_u32 v12, s7, v1
	v_add_u32_e32 v7, v13, v7
	v_mul_lo_u32 v15, s6, v1
	v_add_u32_e32 v7, v7, v12
	v_mul_lo_u32 v13, v1, v7
	v_mul_hi_u32 v17, v1, v15
	v_mul_hi_u32 v12, v1, v7
	v_add_co_u32_e32 v13, vcc, v17, v13
	v_addc_co_u32_e32 v12, vcc, 0, v12, vcc
	v_mul_hi_u32 v18, v3, v15
	v_mul_lo_u32 v15, v3, v15
	v_add_co_u32_e32 v13, vcc, v13, v15
	v_mul_hi_u32 v17, v3, v7
	v_addc_co_u32_e32 v12, vcc, v12, v18, vcc
	v_addc_co_u32_e32 v13, vcc, 0, v17, vcc
	v_mul_lo_u32 v7, v3, v7
	v_add_co_u32_e32 v7, vcc, v12, v7
	v_addc_co_u32_e32 v12, vcc, 0, v13, vcc
	v_add_co_u32_e32 v1, vcc, v1, v7
	v_addc_co_u32_e32 v3, vcc, v3, v12, vcc
	v_mul_lo_u32 v7, s6, v3
	v_mul_hi_u32 v12, s6, v1
	v_add_u32_e32 v7, v12, v7
	v_mul_lo_u32 v12, s7, v1
	v_add_u32_e32 v7, v7, v12
	v_mul_lo_u32 v13, s6, v1
	v_mul_hi_u32 v15, v3, v13
	v_mul_lo_u32 v17, v3, v13
	v_mul_lo_u32 v19, v1, v7
	v_mul_hi_u32 v13, v1, v13
	v_mul_hi_u32 v18, v1, v7
	v_add_co_u32_e32 v13, vcc, v13, v19
	v_addc_co_u32_e32 v18, vcc, 0, v18, vcc
	v_add_co_u32_e32 v13, vcc, v13, v17
	v_mul_hi_u32 v12, v3, v7
	v_addc_co_u32_e32 v13, vcc, v18, v15, vcc
	v_addc_co_u32_e32 v12, vcc, 0, v12, vcc
	v_mul_lo_u32 v7, v3, v7
	v_add_co_u32_e32 v7, vcc, v13, v7
	v_addc_co_u32_e32 v12, vcc, 0, v12, vcc
	v_add_co_u32_e32 v1, vcc, v1, v7
	v_addc_co_u32_e32 v3, vcc, v3, v12, vcc
	v_ashrrev_i32_e32 v7, 31, v11
	v_add_co_u32_e32 v10, vcc, v10, v7
	v_addc_co_u32_e32 v11, vcc, v11, v7, vcc
	v_xor_b32_e32 v17, v10, v7
	v_xor_b32_e32 v15, v11, v7
	v_mad_u64_u32 v[10:11], s[6:7], v17, v3, 0
	v_mul_hi_u32 v12, v17, v1
	v_add_co_u32_e32 v18, vcc, v12, v10
	v_addc_co_u32_e32 v19, vcc, 0, v11, vcc
	v_mad_u64_u32 v[12:13], s[6:7], v15, v1, 0
	v_add_co_u32_e32 v1, vcc, v18, v12
	v_mad_u64_u32 v[10:11], s[6:7], v15, v3, 0
	v_addc_co_u32_e32 v1, vcc, v19, v13, vcc
	v_addc_co_u32_e32 v3, vcc, 0, v11, vcc
	v_add_co_u32_e32 v1, vcc, v1, v10
	v_addc_co_u32_e32 v3, vcc, 0, v3, vcc
	v_mul_lo_u32 v12, s39, v1
	v_mul_lo_u32 v3, s38, v3
	v_mad_u64_u32 v[10:11], s[6:7], s38, v1, 0
	v_add3_u32 v3, v11, v3, v12
	v_sub_u32_e32 v11, v15, v3
	v_mov_b32_e32 v12, s39
	v_sub_co_u32_e32 v10, vcc, v17, v10
	v_subb_co_u32_e64 v11, s[6:7], v11, v12, vcc
	v_subrev_co_u32_e64 v12, s[6:7], s38, v10
	v_subbrev_co_u32_e64 v11, s[6:7], 0, v11, s[6:7]
	v_cmp_le_u32_e64 s[6:7], s39, v11
	v_subb_co_u32_e32 v3, vcc, v15, v3, vcc
	v_cndmask_b32_e64 v13, 0, -1, s[6:7]
	v_cmp_le_u32_e64 s[6:7], s38, v12
	v_cmp_le_u32_e32 vcc, s39, v3
	v_cndmask_b32_e64 v12, 0, -1, s[6:7]
	v_cmp_eq_u32_e64 s[6:7], s39, v11
	v_cndmask_b32_e64 v15, 0, -1, vcc
	v_cmp_le_u32_e32 vcc, s38, v10
	v_cndmask_b32_e64 v11, v13, v12, s[6:7]
	v_cndmask_b32_e64 v10, 0, -1, vcc
	v_cmp_eq_u32_e32 vcc, s39, v3
	v_add_co_u32_e64 v12, s[6:7], 2, v1
	v_add_co_u32_e64 v13, s[6:7], 1, v1
	v_cndmask_b32_e32 v3, v15, v10, vcc
	v_cmp_ne_u32_e32 vcc, 0, v11
	v_cndmask_b32_e32 v10, v13, v12, vcc
	v_cmp_ne_u32_e32 vcc, 0, v3
	v_cndmask_b32_e32 v1, v1, v10, vcc
	v_xor_b32_e32 v3, s36, v7
	v_xor_b32_e32 v1, v1, v3
	v_sub_co_u32_e32 v12, vcc, v1, v3
                                        ; implicit-def: $vgpr3
                                        ; implicit-def: $vgpr10_vgpr11
	s_andn2_saveexec_b64 s[6:7], s[8:9]
	s_cbranch_execz .LBB9_37
.LBB9_39:                               ;   in Loop: Header=BB9_27 Depth=2
	v_rcp_iflag_f32_e32 v1, v3
	s_sub_i32 s8, 0, s54
	v_mul_f32_e32 v1, 0x4f7ffffe, v1
	v_cvt_u32_f32_e32 v1, v1
	v_mul_lo_u32 v3, s8, v1
	v_mul_hi_u32 v3, v1, v3
	v_add_u32_e32 v1, v1, v3
	v_mul_hi_u32 v1, v10, v1
	v_mul_lo_u32 v3, v1, s54
	v_sub_u32_e32 v3, v10, v3
	v_add_u32_e32 v7, 1, v1
	v_subrev_u32_e32 v10, s54, v3
	v_cmp_le_u32_e32 vcc, s54, v3
	v_cndmask_b32_e32 v3, v3, v10, vcc
	v_cndmask_b32_e32 v1, v1, v7, vcc
	v_add_u32_e32 v7, 1, v1
	v_cmp_le_u32_e32 vcc, s54, v3
	v_cndmask_b32_e32 v12, v1, v7, vcc
	s_or_b64 exec, exec, s[6:7]
	s_andn2_b64 vcc, exec, s[2:3]
	s_cbranch_vccnz .LBB9_26
.LBB9_40:                               ;   in Loop: Header=BB9_27 Depth=2
	v_lshlrev_b64 v[10:11], 2, v[8:9]
	v_add_co_u32_e32 v10, vcc, v5, v10
	v_add_u32_e32 v7, 1, v12
	v_addc_co_u32_e32 v11, vcc, v43, v11, vcc
	v_mad_u64_u32 v[12:13], s[6:7], v14, s61, v[16:17]
	v_add_u32_e32 v1, v6, v14
	v_ashrrev_i32_e32 v13, 31, v12
	v_mad_u64_u32 v[14:15], s[8:9], s17, v1, v[16:17]
	v_add_co_u32_e32 v1, vcc, 1, v12
	v_addc_co_u32_e32 v3, vcc, 0, v13, vcc
	v_mul_lo_u32 v3, s54, v3
	v_mul_lo_u32 v9, s33, v1
	v_mad_u64_u32 v[16:17], s[8:9], s54, v1, -1
	v_cmp_gt_i32_e64 s[6:7], v7, v12
	v_add3_u32 v17, v9, v17, v3
	s_mov_b64 s[36:37], s[22:23]
	s_mov_b32 s38, s20
	s_branch .LBB9_42
.LBB9_41:                               ;   in Loop: Header=BB9_42 Depth=3
	s_or_b64 exec, exec, s[40:41]
	s_add_i32 s38, s38, 1
	s_add_u32 s36, s36, s24
	v_cmp_lt_i32_e32 vcc, s38, v38
	s_addc_u32 s37, s37, s25
	s_cbranch_vccz .LBB9_26
.LBB9_42:                               ;   Parent Loop BB9_12 Depth=1
                                        ;     Parent Loop BB9_27 Depth=2
                                        ; =>    This Loop Header: Depth=3
                                        ;         Child Loop BB9_54 Depth 4
                                        ;           Child Loop BB9_69 Depth 5
	s_ashr_i32 s39, s38, 31
	s_add_u32 s8, s38, 1
	s_addc_u32 s9, s39, 0
	s_mul_i32 s29, s8, s11
	s_mul_hi_u32 s40, s8, s10
	s_add_i32 s29, s40, s29
	s_mul_i32 s9, s9, s10
	s_add_i32 s29, s29, s9
	s_mul_i32 s8, s8, s10
	s_add_u32 s40, s8, -1
	s_addc_u32 s41, s29, -1
	s_or_b64 s[8:9], s[40:41], s[18:19]
	s_mov_b32 s29, s9
	s_cmp_lg_u64 s[28:29], 0
	s_cbranch_scc0 .LBB9_81
; %bb.43:                               ;   in Loop: Header=BB9_42 Depth=3
	s_add_u32 s8, s18, s19
	s_mov_b32 s42, s19
	s_mov_b32 s43, s19
	s_addc_u32 s9, s19, s19
	s_xor_b64 s[44:45], s[8:9], s[42:43]
	v_cvt_f32_u32_e32 v1, s44
	v_cvt_f32_u32_e32 v3, s45
	s_sub_u32 s8, 0, s44
	s_subb_u32 s9, 0, s45
	s_ashr_i32 s46, s41, 31
	v_mac_f32_e32 v1, 0x4f800000, v3
	v_rcp_f32_e32 v1, v1
	s_mov_b32 s47, s46
	v_mul_f32_e32 v1, 0x5f7ffffc, v1
	v_mul_f32_e32 v3, 0x2f800000, v1
	v_trunc_f32_e32 v3, v3
	v_mac_f32_e32 v1, 0xcf800000, v3
	v_cvt_u32_f32_e32 v3, v3
	v_cvt_u32_f32_e32 v1, v1
	v_mul_lo_u32 v9, s8, v3
	v_mul_hi_u32 v18, s8, v1
	v_mul_lo_u32 v15, s9, v1
	v_add_u32_e32 v9, v18, v9
	v_mul_lo_u32 v19, s8, v1
	v_add_u32_e32 v9, v9, v15
	v_mul_lo_u32 v18, v1, v9
	v_mul_hi_u32 v20, v1, v19
	v_mul_hi_u32 v15, v1, v9
	v_add_co_u32_e32 v18, vcc, v20, v18
	v_addc_co_u32_e32 v15, vcc, 0, v15, vcc
	v_mul_hi_u32 v21, v3, v19
	v_mul_lo_u32 v19, v3, v19
	v_add_co_u32_e32 v18, vcc, v18, v19
	v_mul_hi_u32 v20, v3, v9
	v_addc_co_u32_e32 v15, vcc, v15, v21, vcc
	v_addc_co_u32_e32 v18, vcc, 0, v20, vcc
	v_mul_lo_u32 v9, v3, v9
	v_add_co_u32_e32 v9, vcc, v15, v9
	v_addc_co_u32_e32 v15, vcc, 0, v18, vcc
	v_add_co_u32_e32 v1, vcc, v1, v9
	v_addc_co_u32_e32 v3, vcc, v3, v15, vcc
	v_mul_lo_u32 v9, s8, v3
	v_mul_hi_u32 v15, s8, v1
	v_add_u32_e32 v9, v15, v9
	v_mul_lo_u32 v15, s9, v1
	v_add_u32_e32 v9, v9, v15
	v_mul_lo_u32 v18, s8, v1
	v_mul_hi_u32 v19, v3, v18
	v_mul_lo_u32 v20, v3, v18
	v_mul_lo_u32 v22, v1, v9
	v_mul_hi_u32 v18, v1, v18
	v_mul_hi_u32 v21, v1, v9
	v_add_co_u32_e32 v18, vcc, v18, v22
	v_addc_co_u32_e32 v21, vcc, 0, v21, vcc
	v_add_co_u32_e32 v18, vcc, v18, v20
	v_mul_hi_u32 v15, v3, v9
	v_addc_co_u32_e32 v18, vcc, v21, v19, vcc
	v_addc_co_u32_e32 v15, vcc, 0, v15, vcc
	v_mul_lo_u32 v9, v3, v9
	v_add_co_u32_e32 v9, vcc, v18, v9
	v_addc_co_u32_e32 v15, vcc, 0, v15, vcc
	s_add_u32 s8, s40, s46
	v_add_co_u32_e32 v1, vcc, v1, v9
	s_addc_u32 s9, s41, s46
	v_addc_co_u32_e32 v3, vcc, v3, v15, vcc
	s_xor_b64 s[48:49], s[8:9], s[46:47]
	v_mul_lo_u32 v15, s48, v3
	v_mul_hi_u32 v18, s48, v1
	v_mul_hi_u32 v9, s48, v3
	v_add_co_u32_e32 v15, vcc, v18, v15
	v_addc_co_u32_e32 v9, vcc, 0, v9, vcc
	v_mul_hi_u32 v19, s49, v1
	v_mul_lo_u32 v1, s49, v1
	v_add_co_u32_e32 v1, vcc, v15, v1
	v_mul_hi_u32 v18, s49, v3
	v_addc_co_u32_e32 v1, vcc, v9, v19, vcc
	v_addc_co_u32_e32 v9, vcc, 0, v18, vcc
	v_mul_lo_u32 v3, s49, v3
	v_add_co_u32_e32 v1, vcc, v1, v3
	v_addc_co_u32_e32 v3, vcc, 0, v9, vcc
	v_mul_lo_u32 v3, s44, v3
	v_mul_hi_u32 v9, s44, v1
	v_add_u32_e32 v3, v9, v3
	v_mul_lo_u32 v9, s45, v1
	v_add_u32_e32 v3, v3, v9
	v_mul_lo_u32 v15, s44, v1
	v_sub_u32_e32 v9, s49, v3
	v_mov_b32_e32 v18, s45
	v_sub_co_u32_e32 v15, vcc, s48, v15
	v_subb_co_u32_e64 v9, s[8:9], v9, v18, vcc
	v_subrev_co_u32_e64 v18, s[8:9], s44, v15
	v_subbrev_co_u32_e64 v9, s[8:9], 0, v9, s[8:9]
	v_cmp_le_u32_e64 s[8:9], s45, v9
	v_cndmask_b32_e64 v19, 0, -1, s[8:9]
	v_cmp_le_u32_e64 s[8:9], s44, v18
	v_cndmask_b32_e64 v18, 0, -1, s[8:9]
	v_cmp_eq_u32_e64 s[8:9], s45, v9
	v_cndmask_b32_e64 v9, v19, v18, s[8:9]
	v_add_co_u32_e64 v18, s[8:9], 1, v1
	v_add_co_u32_e64 v19, s[8:9], 2, v1
	v_cmp_ne_u32_e64 s[8:9], 0, v9
	v_cndmask_b32_e64 v9, v18, v19, s[8:9]
	v_mov_b32_e32 v18, s49
	v_subb_co_u32_e32 v3, vcc, v18, v3, vcc
	v_cmp_le_u32_e32 vcc, s45, v3
	v_cndmask_b32_e64 v18, 0, -1, vcc
	v_cmp_le_u32_e32 vcc, s44, v15
	v_cndmask_b32_e64 v15, 0, -1, vcc
	v_cmp_eq_u32_e32 vcc, s45, v3
	v_cndmask_b32_e32 v3, v18, v15, vcc
	v_cmp_ne_u32_e32 vcc, 0, v3
	v_cndmask_b32_e32 v1, v1, v9, vcc
	s_xor_b64 s[8:9], s[46:47], s[42:43]
	v_xor_b32_e32 v1, s8, v1
	v_subrev_co_u32_e32 v18, vcc, s8, v1
	v_cvt_f32_u32_e32 v1, s18
	s_cbranch_execnz .LBB9_45
.LBB9_44:                               ;   in Loop: Header=BB9_42 Depth=3
	v_rcp_iflag_f32_e32 v3, v1
	s_sub_i32 s8, 0, s18
	v_mul_f32_e32 v3, 0x4f7ffffe, v3
	v_cvt_u32_f32_e32 v3, v3
	v_mul_lo_u32 v9, s8, v3
	v_mul_hi_u32 v9, v3, v9
	v_add_u32_e32 v3, v3, v9
	v_mul_hi_u32 v3, s40, v3
	v_mul_lo_u32 v15, v3, s18
	v_sub_u32_e32 v15, s40, v15
	v_add_u32_e32 v9, 1, v3
	v_subrev_u32_e32 v18, s18, v15
	v_cmp_le_u32_e32 vcc, s18, v15
	v_cndmask_b32_e32 v15, v15, v18, vcc
	v_cndmask_b32_e32 v3, v3, v9, vcc
	v_add_u32_e32 v9, 1, v3
	v_cmp_le_u32_e32 vcc, s18, v15
	v_cndmask_b32_e32 v18, v3, v9, vcc
.LBB9_45:                               ;   in Loop: Header=BB9_42 Depth=3
	s_or_b64 s[8:9], s[38:39], s[18:19]
	s_mov_b32 s29, s9
	s_cmp_lg_u64 s[28:29], 0
	s_cbranch_scc0 .LBB9_82
; %bb.46:                               ;   in Loop: Header=BB9_42 Depth=3
	s_add_u32 s8, s18, s19
	s_mov_b32 s40, s19
	s_mov_b32 s41, s19
	s_addc_u32 s9, s19, s19
	s_xor_b64 s[42:43], s[8:9], s[40:41]
	v_cvt_f32_u32_e32 v3, s42
	v_cvt_f32_u32_e32 v9, s43
	s_sub_u32 s8, 0, s42
	s_subb_u32 s9, 0, s43
	v_mac_f32_e32 v3, 0x4f800000, v9
	v_rcp_f32_e32 v3, v3
	v_mul_f32_e32 v3, 0x5f7ffffc, v3
	v_mul_f32_e32 v9, 0x2f800000, v3
	v_trunc_f32_e32 v9, v9
	v_mac_f32_e32 v3, 0xcf800000, v9
	v_cvt_u32_f32_e32 v9, v9
	v_cvt_u32_f32_e32 v3, v3
	v_readfirstlane_b32 s29, v9
	v_readfirstlane_b32 s44, v3
	s_mul_i32 s45, s8, s29
	s_mul_hi_u32 s47, s8, s44
	s_mul_i32 s46, s9, s44
	s_add_i32 s45, s47, s45
	s_add_i32 s45, s45, s46
	s_mul_i32 s48, s8, s44
	s_mul_hi_u32 s46, s44, s45
	s_mul_i32 s47, s44, s45
	s_mul_hi_u32 s44, s44, s48
	s_add_u32 s44, s44, s47
	s_addc_u32 s46, 0, s46
	s_mul_hi_u32 s49, s29, s48
	s_mul_i32 s48, s29, s48
	s_add_u32 s44, s44, s48
	s_mul_hi_u32 s47, s29, s45
	s_addc_u32 s44, s46, s49
	s_addc_u32 s46, s47, 0
	s_mul_i32 s45, s29, s45
	s_add_u32 s44, s44, s45
	s_addc_u32 s45, 0, s46
	v_add_co_u32_e32 v3, vcc, s44, v3
	s_cmp_lg_u64 vcc, 0
	s_addc_u32 s29, s29, s45
	v_readfirstlane_b32 s45, v3
	s_mul_i32 s44, s8, s29
	s_mul_hi_u32 s46, s8, s45
	s_add_i32 s44, s46, s44
	s_mul_i32 s9, s9, s45
	s_add_i32 s44, s44, s9
	s_mul_i32 s8, s8, s45
	s_mul_hi_u32 s46, s29, s8
	s_mul_i32 s47, s29, s8
	s_mul_i32 s49, s45, s44
	s_mul_hi_u32 s8, s45, s8
	s_mul_hi_u32 s48, s45, s44
	s_add_u32 s8, s8, s49
	s_addc_u32 s45, 0, s48
	s_add_u32 s8, s8, s47
	s_mul_hi_u32 s9, s29, s44
	s_addc_u32 s8, s45, s46
	s_addc_u32 s9, s9, 0
	s_mul_i32 s44, s29, s44
	s_add_u32 s8, s8, s44
	s_addc_u32 s9, 0, s9
	v_add_co_u32_e32 v3, vcc, s8, v3
	s_cmp_lg_u64 vcc, 0
	s_addc_u32 s29, s29, s9
	s_ashr_i32 s44, s39, 31
	s_add_u32 s8, s38, s44
	s_mov_b32 s45, s44
	s_addc_u32 s9, s39, s44
	s_xor_b64 s[46:47], s[8:9], s[44:45]
	v_readfirstlane_b32 s48, v3
	s_mul_i32 s9, s46, s29
	s_mul_hi_u32 s49, s46, s48
	s_mul_hi_u32 s8, s46, s29
	s_add_u32 s9, s49, s9
	s_addc_u32 s8, 0, s8
	s_mul_hi_u32 s50, s47, s48
	s_mul_i32 s48, s47, s48
	s_add_u32 s9, s9, s48
	s_mul_hi_u32 s49, s47, s29
	s_addc_u32 s8, s8, s50
	s_addc_u32 s9, s49, 0
	s_mul_i32 s29, s47, s29
	s_add_u32 s29, s8, s29
	s_addc_u32 s48, 0, s9
	s_mul_i32 s8, s42, s48
	s_mul_hi_u32 s9, s42, s29
	s_add_i32 s8, s9, s8
	s_mul_i32 s9, s43, s29
	s_add_i32 s49, s8, s9
	s_mul_i32 s9, s42, s29
	v_mov_b32_e32 v3, s9
	s_sub_i32 s8, s47, s49
	v_sub_co_u32_e32 v3, vcc, s46, v3
	s_cmp_lg_u64 vcc, 0
	s_subb_u32 s46, s8, s43
	v_subrev_co_u32_e64 v9, s[8:9], s42, v3
	s_cmp_lg_u64 s[8:9], 0
	s_subb_u32 s8, s46, 0
	s_cmp_ge_u32 s8, s43
	v_readfirstlane_b32 s46, v9
	s_cselect_b32 s9, -1, 0
	s_cmp_ge_u32 s46, s42
	s_cselect_b32 s46, -1, 0
	s_cmp_eq_u32 s8, s43
	s_cselect_b32 s8, s46, s9
	s_add_u32 s9, s29, 1
	s_addc_u32 s46, s48, 0
	s_add_u32 s50, s29, 2
	s_addc_u32 s51, s48, 0
	s_cmp_lg_u32 s8, 0
	s_cselect_b32 s8, s50, s9
	s_cselect_b32 s9, s51, s46
	s_cmp_lg_u64 vcc, 0
	s_subb_u32 s46, s47, s49
	s_cmp_ge_u32 s46, s43
	v_readfirstlane_b32 s49, v3
	s_cselect_b32 s47, -1, 0
	s_cmp_ge_u32 s49, s42
	s_cselect_b32 s42, -1, 0
	s_cmp_eq_u32 s46, s43
	s_cselect_b32 s42, s42, s47
	s_cmp_lg_u32 s42, 0
	s_cselect_b32 s9, s9, s48
	s_cselect_b32 s8, s8, s29
	s_xor_b64 s[40:41], s[44:45], s[40:41]
	s_xor_b64 s[8:9], s[8:9], s[40:41]
	s_sub_u32 s42, s8, s40
	s_subb_u32 s43, s9, s41
	s_cbranch_execnz .LBB9_48
.LBB9_47:                               ;   in Loop: Header=BB9_42 Depth=3
	v_rcp_iflag_f32_e32 v3, v1
	s_sub_i32 s8, 0, s18
	s_mov_b32 s43, s28
	v_mul_f32_e32 v3, 0x4f7ffffe, v3
	v_cvt_u32_f32_e32 v3, v3
	v_readfirstlane_b32 s9, v3
	s_mul_i32 s8, s8, s9
	s_mul_hi_u32 s8, s9, s8
	s_add_i32 s9, s9, s8
	s_mul_hi_u32 s8, s38, s9
	s_mul_i32 s29, s8, s18
	s_sub_i32 s29, s38, s29
	s_add_i32 s9, s8, 1
	s_sub_i32 s40, s29, s18
	s_cmp_ge_u32 s29, s18
	s_cselect_b32 s8, s9, s8
	s_cselect_b32 s29, s40, s29
	s_add_i32 s9, s8, 1
	s_cmp_ge_u32 s29, s18
	s_cselect_b32 s42, s9, s8
.LBB9_48:                               ;   in Loop: Header=BB9_42 Depth=3
	s_mul_i32 s8, s42, s19
	s_mul_hi_u32 s9, s42, s18
	s_add_i32 s8, s9, s8
	s_mul_i32 s9, s43, s18
	s_add_i32 s8, s8, s9
	s_mul_i32 s9, s42, s18
	s_sub_u32 s9, s38, s9
	s_subb_u32 s8, s39, s8
	s_mul_i32 s29, s9, s11
	s_mul_hi_u32 s39, s9, s10
	s_add_i32 s29, s39, s29
	s_mul_i32 s8, s8, s10
	s_add_i32 s41, s29, s8
	s_mul_i32 s40, s9, s10
	s_or_b64 s[8:9], s[40:41], s[18:19]
	s_mov_b32 s29, s9
	s_cmp_lg_u64 s[28:29], 0
	s_cbranch_scc0 .LBB9_83
; %bb.49:                               ;   in Loop: Header=BB9_42 Depth=3
	s_add_u32 s8, s18, s19
	s_mov_b32 s44, s19
	s_mov_b32 s45, s19
	s_addc_u32 s9, s19, s19
	s_xor_b64 s[46:47], s[8:9], s[44:45]
	v_cvt_f32_u32_e32 v3, s46
	v_cvt_f32_u32_e32 v9, s47
	s_sub_u32 s8, 0, s46
	s_subb_u32 s9, 0, s47
	s_ashr_i32 s48, s41, 31
	v_mac_f32_e32 v3, 0x4f800000, v9
	v_rcp_f32_e32 v3, v3
	s_mov_b32 s49, s48
	v_mul_f32_e32 v3, 0x5f7ffffc, v3
	v_mul_f32_e32 v9, 0x2f800000, v3
	v_trunc_f32_e32 v9, v9
	v_mac_f32_e32 v3, 0xcf800000, v9
	v_cvt_u32_f32_e32 v9, v9
	v_cvt_u32_f32_e32 v3, v3
	v_mul_lo_u32 v15, s8, v9
	v_mul_hi_u32 v20, s8, v3
	v_mul_lo_u32 v19, s9, v3
	v_add_u32_e32 v15, v20, v15
	v_mul_lo_u32 v21, s8, v3
	v_add_u32_e32 v15, v15, v19
	v_mul_lo_u32 v20, v3, v15
	v_mul_hi_u32 v22, v3, v21
	v_mul_hi_u32 v19, v3, v15
	v_add_co_u32_e32 v20, vcc, v22, v20
	v_addc_co_u32_e32 v19, vcc, 0, v19, vcc
	v_mul_hi_u32 v23, v9, v21
	v_mul_lo_u32 v21, v9, v21
	v_add_co_u32_e32 v20, vcc, v20, v21
	v_mul_hi_u32 v22, v9, v15
	v_addc_co_u32_e32 v19, vcc, v19, v23, vcc
	v_addc_co_u32_e32 v20, vcc, 0, v22, vcc
	v_mul_lo_u32 v15, v9, v15
	v_add_co_u32_e32 v15, vcc, v19, v15
	v_addc_co_u32_e32 v19, vcc, 0, v20, vcc
	v_add_co_u32_e32 v3, vcc, v3, v15
	v_addc_co_u32_e32 v9, vcc, v9, v19, vcc
	v_mul_lo_u32 v15, s8, v9
	v_mul_hi_u32 v19, s8, v3
	v_add_u32_e32 v15, v19, v15
	v_mul_lo_u32 v19, s9, v3
	v_add_u32_e32 v15, v15, v19
	v_mul_lo_u32 v20, s8, v3
	v_mul_hi_u32 v21, v9, v20
	v_mul_lo_u32 v22, v9, v20
	v_mul_lo_u32 v24, v3, v15
	v_mul_hi_u32 v20, v3, v20
	v_mul_hi_u32 v23, v3, v15
	v_add_co_u32_e32 v20, vcc, v20, v24
	v_addc_co_u32_e32 v23, vcc, 0, v23, vcc
	v_add_co_u32_e32 v20, vcc, v20, v22
	v_mul_hi_u32 v19, v9, v15
	v_addc_co_u32_e32 v20, vcc, v23, v21, vcc
	v_addc_co_u32_e32 v19, vcc, 0, v19, vcc
	v_mul_lo_u32 v15, v9, v15
	v_add_co_u32_e32 v15, vcc, v20, v15
	v_addc_co_u32_e32 v19, vcc, 0, v19, vcc
	s_add_u32 s8, s40, s48
	v_add_co_u32_e32 v3, vcc, v3, v15
	s_addc_u32 s9, s41, s48
	v_addc_co_u32_e32 v9, vcc, v9, v19, vcc
	s_xor_b64 s[50:51], s[8:9], s[48:49]
	v_mul_lo_u32 v19, s50, v9
	v_mul_hi_u32 v20, s50, v3
	v_mul_hi_u32 v15, s50, v9
	v_add_co_u32_e32 v19, vcc, v20, v19
	v_addc_co_u32_e32 v15, vcc, 0, v15, vcc
	v_mul_hi_u32 v21, s51, v3
	v_mul_lo_u32 v3, s51, v3
	v_add_co_u32_e32 v3, vcc, v19, v3
	v_mul_hi_u32 v20, s51, v9
	v_addc_co_u32_e32 v3, vcc, v15, v21, vcc
	v_addc_co_u32_e32 v15, vcc, 0, v20, vcc
	v_mul_lo_u32 v9, s51, v9
	v_add_co_u32_e32 v3, vcc, v3, v9
	v_addc_co_u32_e32 v9, vcc, 0, v15, vcc
	v_mul_lo_u32 v9, s46, v9
	v_mul_hi_u32 v15, s46, v3
	v_add_u32_e32 v9, v15, v9
	v_mul_lo_u32 v15, s47, v3
	v_add_u32_e32 v9, v9, v15
	v_mul_lo_u32 v19, s46, v3
	v_sub_u32_e32 v15, s51, v9
	v_mov_b32_e32 v20, s47
	v_sub_co_u32_e32 v19, vcc, s50, v19
	v_subb_co_u32_e64 v15, s[8:9], v15, v20, vcc
	v_subrev_co_u32_e64 v20, s[8:9], s46, v19
	v_subbrev_co_u32_e64 v15, s[8:9], 0, v15, s[8:9]
	v_cmp_le_u32_e64 s[8:9], s47, v15
	v_cndmask_b32_e64 v21, 0, -1, s[8:9]
	v_cmp_le_u32_e64 s[8:9], s46, v20
	v_cndmask_b32_e64 v20, 0, -1, s[8:9]
	v_cmp_eq_u32_e64 s[8:9], s47, v15
	v_cndmask_b32_e64 v15, v21, v20, s[8:9]
	v_add_co_u32_e64 v20, s[8:9], 1, v3
	v_add_co_u32_e64 v21, s[8:9], 2, v3
	v_cmp_ne_u32_e64 s[8:9], 0, v15
	v_cndmask_b32_e64 v15, v20, v21, s[8:9]
	v_mov_b32_e32 v20, s51
	v_subb_co_u32_e32 v9, vcc, v20, v9, vcc
	v_cmp_le_u32_e32 vcc, s47, v9
	v_cndmask_b32_e64 v20, 0, -1, vcc
	v_cmp_le_u32_e32 vcc, s46, v19
	v_cndmask_b32_e64 v19, 0, -1, vcc
	v_cmp_eq_u32_e32 vcc, s47, v9
	v_cndmask_b32_e32 v9, v20, v19, vcc
	v_cmp_ne_u32_e32 vcc, 0, v9
	v_cndmask_b32_e32 v3, v3, v15, vcc
	s_xor_b64 s[8:9], s[48:49], s[44:45]
	v_xor_b32_e32 v3, s8, v3
	v_subrev_co_u32_e32 v20, vcc, s8, v3
	s_cbranch_execnz .LBB9_51
.LBB9_50:                               ;   in Loop: Header=BB9_42 Depth=3
	v_rcp_iflag_f32_e32 v1, v1
	s_sub_i32 s8, 0, s18
	v_mul_f32_e32 v1, 0x4f7ffffe, v1
	v_cvt_u32_f32_e32 v1, v1
	v_mul_lo_u32 v3, s8, v1
	v_mul_hi_u32 v3, v1, v3
	v_add_u32_e32 v1, v1, v3
	v_mul_hi_u32 v1, s40, v1
	v_mul_lo_u32 v9, v1, s18
	v_sub_u32_e32 v9, s40, v9
	v_add_u32_e32 v3, 1, v1
	v_subrev_u32_e32 v15, s18, v9
	v_cmp_le_u32_e32 vcc, s18, v9
	v_cndmask_b32_e32 v9, v9, v15, vcc
	v_cndmask_b32_e32 v1, v1, v3, vcc
	v_add_u32_e32 v3, 1, v1
	v_cmp_le_u32_e32 vcc, s18, v9
	v_cndmask_b32_e32 v20, v1, v3, vcc
.LBB9_51:                               ;   in Loop: Header=BB9_42 Depth=3
	s_and_saveexec_b64 s[40:41], s[4:5]
	s_cbranch_execz .LBB9_41
; %bb.52:                               ;   in Loop: Header=BB9_42 Depth=3
	s_mul_i32 s8, s42, s10
	v_add_u32_e32 v1, s8, v20
	v_sub_u32_e32 v1, v18, v1
	v_add_u32_e32 v9, 1, v1
	s_mov_b64 s[42:43], 0
	v_mov_b32_e32 v18, v14
	v_mov_b32_e32 v20, v4
	s_branch .LBB9_54
.LBB9_53:                               ;   in Loop: Header=BB9_54 Depth=4
	s_or_b64 exec, exec, s[44:45]
	v_add_u32_e32 v20, 1, v20
	v_cmp_ge_i32_e32 vcc, v20, v42
	s_or_b64 s[42:43], vcc, s[42:43]
	v_add_u32_e32 v18, s17, v18
	s_andn2_b64 exec, exec, s[42:43]
	s_cbranch_execz .LBB9_41
.LBB9_54:                               ;   Parent Loop BB9_12 Depth=1
                                        ;     Parent Loop BB9_27 Depth=2
                                        ;       Parent Loop BB9_42 Depth=3
                                        ; =>      This Loop Header: Depth=4
                                        ;           Child Loop BB9_69 Depth 5
	s_and_saveexec_b64 s[44:45], s[6:7]
	s_cbranch_execz .LBB9_53
; %bb.55:                               ;   in Loop: Header=BB9_54 Depth=4
	v_ashrrev_i32_e32 v3, 31, v20
	v_add_co_u32_e32 v1, vcc, 1, v20
	v_addc_co_u32_e32 v15, vcc, 0, v3, vcc
	v_mul_lo_u32 v19, v1, s12
	v_mul_lo_u32 v15, v15, s21
	v_mad_u64_u32 v[22:23], s[8:9], v1, s21, -1
	v_add3_u32 v23, v15, v23, v19
	v_or_b32_e32 v1, s58, v23
	v_cmp_ne_u64_e32 vcc, 0, v[0:1]
                                        ; implicit-def: $vgpr24_vgpr25
	s_and_saveexec_b64 s[8:9], vcc
	s_xor_b64 s[46:47], exec, s[8:9]
	s_cbranch_execz .LBB9_57
; %bb.56:                               ;   in Loop: Header=BB9_54 Depth=4
	s_add_u32 s8, s59, s58
	s_mov_b32 s48, s58
	s_mov_b32 s49, s58
	s_addc_u32 s9, s58, s58
	s_xor_b64 s[50:51], s[8:9], s[48:49]
	v_cvt_f32_u32_e32 v1, s50
	v_cvt_f32_u32_e32 v15, s51
	s_sub_u32 s8, 0, s50
	s_subb_u32 s9, 0, s51
	v_mac_f32_e32 v1, 0x4f800000, v15
	v_rcp_f32_e32 v1, v1
	v_mul_f32_e32 v1, 0x5f7ffffc, v1
	v_mul_f32_e32 v15, 0x2f800000, v1
	v_trunc_f32_e32 v15, v15
	v_mac_f32_e32 v1, 0xcf800000, v15
	v_cvt_u32_f32_e32 v15, v15
	v_cvt_u32_f32_e32 v1, v1
	v_mul_lo_u32 v19, s8, v15
	v_mul_hi_u32 v24, s8, v1
	v_mul_lo_u32 v21, s9, v1
	v_add_u32_e32 v19, v24, v19
	v_mul_lo_u32 v25, s8, v1
	v_add_u32_e32 v19, v19, v21
	v_mul_lo_u32 v24, v1, v19
	v_mul_hi_u32 v26, v1, v25
	v_mul_hi_u32 v21, v1, v19
	v_add_co_u32_e32 v24, vcc, v26, v24
	v_addc_co_u32_e32 v21, vcc, 0, v21, vcc
	v_mul_hi_u32 v27, v15, v25
	v_mul_lo_u32 v25, v15, v25
	v_add_co_u32_e32 v24, vcc, v24, v25
	v_mul_hi_u32 v26, v15, v19
	v_addc_co_u32_e32 v21, vcc, v21, v27, vcc
	v_addc_co_u32_e32 v24, vcc, 0, v26, vcc
	v_mul_lo_u32 v19, v15, v19
	v_add_co_u32_e32 v19, vcc, v21, v19
	v_addc_co_u32_e32 v21, vcc, 0, v24, vcc
	v_add_co_u32_e32 v1, vcc, v1, v19
	v_addc_co_u32_e32 v15, vcc, v15, v21, vcc
	v_mul_lo_u32 v19, s8, v15
	v_mul_hi_u32 v21, s8, v1
	v_add_u32_e32 v19, v21, v19
	v_mul_lo_u32 v21, s9, v1
	v_add_u32_e32 v19, v19, v21
	v_mul_lo_u32 v24, s8, v1
	v_mul_hi_u32 v25, v15, v24
	v_mul_lo_u32 v26, v15, v24
	v_mul_lo_u32 v28, v1, v19
	v_mul_hi_u32 v24, v1, v24
	v_mul_hi_u32 v27, v1, v19
	v_add_co_u32_e32 v24, vcc, v24, v28
	v_addc_co_u32_e32 v27, vcc, 0, v27, vcc
	v_add_co_u32_e32 v24, vcc, v24, v26
	v_mul_hi_u32 v21, v15, v19
	v_addc_co_u32_e32 v24, vcc, v27, v25, vcc
	v_addc_co_u32_e32 v21, vcc, 0, v21, vcc
	v_mul_lo_u32 v19, v15, v19
	v_add_co_u32_e32 v19, vcc, v24, v19
	v_addc_co_u32_e32 v21, vcc, 0, v21, vcc
	v_add_co_u32_e32 v1, vcc, v1, v19
	v_addc_co_u32_e32 v15, vcc, v15, v21, vcc
	v_ashrrev_i32_e32 v19, 31, v23
	v_add_co_u32_e32 v21, vcc, v22, v19
	v_addc_co_u32_e32 v22, vcc, v23, v19, vcc
	v_xor_b32_e32 v21, v21, v19
	v_xor_b32_e32 v26, v22, v19
	v_mad_u64_u32 v[22:23], s[8:9], v21, v15, 0
	v_mul_hi_u32 v24, v21, v1
	v_add_co_u32_e32 v27, vcc, v24, v22
	v_addc_co_u32_e32 v28, vcc, 0, v23, vcc
	v_mad_u64_u32 v[24:25], s[8:9], v26, v1, 0
	v_add_co_u32_e32 v1, vcc, v27, v24
	v_mad_u64_u32 v[22:23], s[8:9], v26, v15, 0
	v_addc_co_u32_e32 v1, vcc, v28, v25, vcc
	v_addc_co_u32_e32 v15, vcc, 0, v23, vcc
	v_add_co_u32_e32 v1, vcc, v1, v22
	v_addc_co_u32_e32 v15, vcc, 0, v15, vcc
	v_mul_lo_u32 v24, s51, v1
	v_mul_lo_u32 v15, s50, v15
	v_mad_u64_u32 v[22:23], s[8:9], s50, v1, 0
	v_add3_u32 v15, v23, v15, v24
	v_sub_u32_e32 v23, v26, v15
	v_mov_b32_e32 v24, s51
	v_sub_co_u32_e32 v21, vcc, v21, v22
	v_subb_co_u32_e64 v22, s[8:9], v23, v24, vcc
	v_subrev_co_u32_e64 v23, s[8:9], s50, v21
	v_subbrev_co_u32_e64 v22, s[8:9], 0, v22, s[8:9]
	v_cmp_le_u32_e64 s[8:9], s51, v22
	v_subb_co_u32_e32 v15, vcc, v26, v15, vcc
	v_cndmask_b32_e64 v24, 0, -1, s[8:9]
	v_cmp_le_u32_e64 s[8:9], s50, v23
	v_cmp_le_u32_e32 vcc, s51, v15
	v_cndmask_b32_e64 v23, 0, -1, s[8:9]
	v_cmp_eq_u32_e64 s[8:9], s51, v22
	v_cndmask_b32_e64 v25, 0, -1, vcc
	v_cmp_le_u32_e32 vcc, s50, v21
	v_cndmask_b32_e64 v22, v24, v23, s[8:9]
	v_cndmask_b32_e64 v21, 0, -1, vcc
	v_cmp_eq_u32_e32 vcc, s51, v15
	v_add_co_u32_e64 v23, s[8:9], 2, v1
	v_add_co_u32_e64 v24, s[8:9], 1, v1
	v_cndmask_b32_e32 v15, v25, v21, vcc
	v_cmp_ne_u32_e32 vcc, 0, v22
	v_cndmask_b32_e32 v21, v24, v23, vcc
	v_cmp_ne_u32_e32 vcc, 0, v15
	v_cndmask_b32_e32 v1, v1, v21, vcc
	v_xor_b32_e32 v15, s48, v19
	v_xor_b32_e32 v1, v1, v15
	v_sub_co_u32_e32 v24, vcc, v1, v15
                                        ; implicit-def: $vgpr22_vgpr23
.LBB9_57:                               ;   in Loop: Header=BB9_54 Depth=4
	s_or_saveexec_b64 s[8:9], s[46:47]
	v_cvt_f32_u32_e32 v15, s59
	s_xor_b64 exec, exec, s[8:9]
	s_cbranch_execz .LBB9_59
; %bb.58:                               ;   in Loop: Header=BB9_54 Depth=4
	v_rcp_iflag_f32_e32 v1, v15
	s_sub_i32 s29, 0, s59
	v_mul_f32_e32 v1, 0x4f7ffffe, v1
	v_cvt_u32_f32_e32 v1, v1
	v_mul_lo_u32 v19, s29, v1
	v_mul_hi_u32 v19, v1, v19
	v_add_u32_e32 v1, v1, v19
	v_mul_hi_u32 v1, v22, v1
	v_mul_lo_u32 v19, v1, s59
	v_sub_u32_e32 v19, v22, v19
	v_add_u32_e32 v21, 1, v1
	v_subrev_u32_e32 v22, s59, v19
	v_cmp_le_u32_e32 vcc, s59, v19
	v_cndmask_b32_e32 v19, v19, v22, vcc
	v_cndmask_b32_e32 v1, v1, v21, vcc
	v_add_u32_e32 v21, 1, v1
	v_cmp_le_u32_e32 vcc, s59, v19
	v_cndmask_b32_e32 v24, v1, v21, vcc
.LBB9_59:                               ;   in Loop: Header=BB9_54 Depth=4
	s_or_b64 exec, exec, s[8:9]
	v_or_b32_e32 v1, s58, v3
	v_cmp_ne_u64_e32 vcc, 0, v[0:1]
                                        ; implicit-def: $vgpr26_vgpr27
	s_and_saveexec_b64 s[8:9], vcc
	s_xor_b64 s[46:47], exec, s[8:9]
	s_cbranch_execz .LBB9_61
; %bb.60:                               ;   in Loop: Header=BB9_54 Depth=4
	s_add_u32 s8, s59, s58
	s_mov_b32 s48, s58
	s_mov_b32 s49, s58
	s_addc_u32 s9, s58, s58
	s_xor_b64 s[50:51], s[8:9], s[48:49]
	v_cvt_f32_u32_e32 v1, s50
	v_cvt_f32_u32_e32 v19, s51
	s_sub_u32 s8, 0, s50
	s_subb_u32 s9, 0, s51
	v_mac_f32_e32 v1, 0x4f800000, v19
	v_rcp_f32_e32 v1, v1
	v_mul_f32_e32 v1, 0x5f7ffffc, v1
	v_mul_f32_e32 v19, 0x2f800000, v1
	v_trunc_f32_e32 v19, v19
	v_mac_f32_e32 v1, 0xcf800000, v19
	v_cvt_u32_f32_e32 v19, v19
	v_cvt_u32_f32_e32 v1, v1
	v_mul_lo_u32 v21, s8, v19
	v_mul_hi_u32 v23, s8, v1
	v_mul_lo_u32 v22, s9, v1
	v_add_u32_e32 v21, v23, v21
	v_mul_lo_u32 v25, s8, v1
	v_add_u32_e32 v21, v21, v22
	v_mul_lo_u32 v23, v1, v21
	v_mul_hi_u32 v26, v1, v25
	v_mul_hi_u32 v22, v1, v21
	v_add_co_u32_e32 v23, vcc, v26, v23
	v_addc_co_u32_e32 v22, vcc, 0, v22, vcc
	v_mul_hi_u32 v27, v19, v25
	v_mul_lo_u32 v25, v19, v25
	v_add_co_u32_e32 v23, vcc, v23, v25
	v_mul_hi_u32 v26, v19, v21
	v_addc_co_u32_e32 v22, vcc, v22, v27, vcc
	v_addc_co_u32_e32 v23, vcc, 0, v26, vcc
	v_mul_lo_u32 v21, v19, v21
	v_add_co_u32_e32 v21, vcc, v22, v21
	v_addc_co_u32_e32 v22, vcc, 0, v23, vcc
	v_add_co_u32_e32 v1, vcc, v1, v21
	v_addc_co_u32_e32 v19, vcc, v19, v22, vcc
	v_mul_lo_u32 v21, s8, v19
	v_mul_hi_u32 v22, s8, v1
	v_add_u32_e32 v21, v22, v21
	v_mul_lo_u32 v22, s9, v1
	v_add_u32_e32 v21, v21, v22
	v_mul_lo_u32 v23, s8, v1
	v_mul_hi_u32 v25, v19, v23
	v_mul_lo_u32 v26, v19, v23
	v_mul_lo_u32 v28, v1, v21
	v_mul_hi_u32 v23, v1, v23
	v_mul_hi_u32 v27, v1, v21
	v_add_co_u32_e32 v23, vcc, v23, v28
	v_addc_co_u32_e32 v27, vcc, 0, v27, vcc
	v_add_co_u32_e32 v23, vcc, v23, v26
	v_mul_hi_u32 v22, v19, v21
	v_addc_co_u32_e32 v23, vcc, v27, v25, vcc
	v_addc_co_u32_e32 v22, vcc, 0, v22, vcc
	v_mul_lo_u32 v21, v19, v21
	v_add_co_u32_e32 v21, vcc, v23, v21
	v_addc_co_u32_e32 v22, vcc, 0, v22, vcc
	v_add_co_u32_e32 v1, vcc, v1, v21
	v_addc_co_u32_e32 v19, vcc, v19, v22, vcc
	v_ashrrev_i32_e32 v21, 31, v3
	v_add_co_u32_e32 v22, vcc, v20, v21
	v_addc_co_u32_e32 v23, vcc, v3, v21, vcc
	v_xor_b32_e32 v28, v22, v21
	v_xor_b32_e32 v25, v23, v21
	v_mad_u64_u32 v[22:23], s[8:9], v28, v19, 0
	v_mul_hi_u32 v26, v28, v1
	v_add_co_u32_e32 v29, vcc, v26, v22
	v_addc_co_u32_e32 v30, vcc, 0, v23, vcc
	v_mad_u64_u32 v[26:27], s[8:9], v25, v1, 0
	v_add_co_u32_e32 v1, vcc, v29, v26
	v_mad_u64_u32 v[22:23], s[8:9], v25, v19, 0
	v_addc_co_u32_e32 v1, vcc, v30, v27, vcc
	v_addc_co_u32_e32 v19, vcc, 0, v23, vcc
	v_add_co_u32_e32 v1, vcc, v1, v22
	v_addc_co_u32_e32 v19, vcc, 0, v19, vcc
	v_mul_lo_u32 v26, s51, v1
	v_mul_lo_u32 v27, s50, v19
	v_mad_u64_u32 v[22:23], s[8:9], s50, v1, 0
	v_add3_u32 v23, v23, v27, v26
	v_sub_u32_e32 v26, v25, v23
	v_mov_b32_e32 v27, s51
	v_sub_co_u32_e32 v22, vcc, v28, v22
	v_subb_co_u32_e64 v26, s[8:9], v26, v27, vcc
	v_subrev_co_u32_e64 v27, s[8:9], s50, v22
	v_subbrev_co_u32_e64 v26, s[8:9], 0, v26, s[8:9]
	v_cmp_le_u32_e64 s[8:9], s51, v26
	v_cndmask_b32_e64 v28, 0, -1, s[8:9]
	v_cmp_le_u32_e64 s[8:9], s50, v27
	v_cndmask_b32_e64 v27, 0, -1, s[8:9]
	v_cmp_eq_u32_e64 s[8:9], s51, v26
	v_cndmask_b32_e64 v26, v28, v27, s[8:9]
	v_add_co_u32_e64 v27, s[8:9], 2, v1
	v_subb_co_u32_e32 v23, vcc, v25, v23, vcc
	v_addc_co_u32_e64 v28, s[8:9], 0, v19, s[8:9]
	v_cmp_le_u32_e32 vcc, s51, v23
	v_add_co_u32_e64 v29, s[8:9], 1, v1
	v_cndmask_b32_e64 v25, 0, -1, vcc
	v_cmp_le_u32_e32 vcc, s50, v22
	v_addc_co_u32_e64 v30, s[8:9], 0, v19, s[8:9]
	v_cndmask_b32_e64 v22, 0, -1, vcc
	v_cmp_eq_u32_e32 vcc, s51, v23
	v_cmp_ne_u32_e64 s[8:9], 0, v26
	v_cndmask_b32_e32 v22, v25, v22, vcc
	v_cmp_ne_u32_e32 vcc, 0, v22
	v_cndmask_b32_e64 v22, v29, v27, s[8:9]
	v_cndmask_b32_e64 v26, v30, v28, s[8:9]
	v_cndmask_b32_e32 v1, v1, v22, vcc
	v_xor_b32_e32 v22, s49, v21
	v_xor_b32_e32 v21, s48, v21
	v_cndmask_b32_e32 v19, v19, v26, vcc
	v_xor_b32_e32 v1, v1, v21
	v_xor_b32_e32 v19, v19, v22
	v_sub_co_u32_e32 v26, vcc, v1, v21
	v_subb_co_u32_e32 v27, vcc, v19, v22, vcc
.LBB9_61:                               ;   in Loop: Header=BB9_54 Depth=4
	s_andn2_saveexec_b64 s[8:9], s[46:47]
	s_cbranch_execz .LBB9_63
; %bb.62:                               ;   in Loop: Header=BB9_54 Depth=4
	v_rcp_iflag_f32_e32 v1, v15
	s_sub_i32 s29, 0, s59
	v_mov_b32_e32 v27, v0
	v_mul_f32_e32 v1, 0x4f7ffffe, v1
	v_cvt_u32_f32_e32 v1, v1
	v_mul_lo_u32 v19, s29, v1
	v_mul_hi_u32 v19, v1, v19
	v_add_u32_e32 v1, v1, v19
	v_mul_hi_u32 v1, v20, v1
	v_mul_lo_u32 v19, v1, s59
	v_sub_u32_e32 v19, v20, v19
	v_add_u32_e32 v21, 1, v1
	v_subrev_u32_e32 v22, s59, v19
	v_cmp_le_u32_e32 vcc, s59, v19
	v_cndmask_b32_e32 v19, v19, v22, vcc
	v_cndmask_b32_e32 v1, v1, v21, vcc
	v_add_u32_e32 v21, 1, v1
	v_cmp_le_u32_e32 vcc, s59, v19
	v_cndmask_b32_e32 v26, v1, v21, vcc
.LBB9_63:                               ;   in Loop: Header=BB9_54 Depth=4
	s_or_b64 exec, exec, s[8:9]
	v_mul_lo_u32 v1, v27, s59
	v_mul_lo_u32 v19, v26, s58
	v_mad_u64_u32 v[22:23], s[8:9], v26, s59, 0
	v_add3_u32 v1, v23, v19, v1
	v_sub_co_u32_e32 v19, vcc, v20, v22
	v_subb_co_u32_e32 v1, vcc, v3, v1, vcc
	v_mul_lo_u32 v1, v1, s21
	v_mul_lo_u32 v3, v19, s12
	v_mad_u64_u32 v[22:23], s[8:9], v19, s21, 0
	v_add3_u32 v23, v23, v3, v1
	v_or_b32_e32 v1, s58, v23
	v_cmp_ne_u64_e32 vcc, 0, v[0:1]
                                        ; implicit-def: $vgpr28_vgpr29
	s_and_saveexec_b64 s[8:9], vcc
	s_xor_b64 s[46:47], exec, s[8:9]
	s_cbranch_execz .LBB9_65
; %bb.64:                               ;   in Loop: Header=BB9_54 Depth=4
	s_add_u32 s8, s59, s58
	s_mov_b32 s48, s58
	s_mov_b32 s49, s58
	s_addc_u32 s9, s58, s58
	s_xor_b64 s[50:51], s[8:9], s[48:49]
	v_cvt_f32_u32_e32 v1, s50
	v_cvt_f32_u32_e32 v3, s51
	s_sub_u32 s8, 0, s50
	s_subb_u32 s9, 0, s51
	v_mac_f32_e32 v1, 0x4f800000, v3
	v_rcp_f32_e32 v1, v1
	v_mul_f32_e32 v1, 0x5f7ffffc, v1
	v_mul_f32_e32 v3, 0x2f800000, v1
	v_trunc_f32_e32 v3, v3
	v_mac_f32_e32 v1, 0xcf800000, v3
	v_cvt_u32_f32_e32 v3, v3
	v_cvt_u32_f32_e32 v1, v1
	v_mul_lo_u32 v15, s8, v3
	v_mul_hi_u32 v21, s8, v1
	v_mul_lo_u32 v19, s9, v1
	v_add_u32_e32 v15, v21, v15
	v_mul_lo_u32 v25, s8, v1
	v_add_u32_e32 v15, v15, v19
	v_mul_lo_u32 v21, v1, v15
	v_mul_hi_u32 v27, v1, v25
	v_mul_hi_u32 v19, v1, v15
	v_add_co_u32_e32 v21, vcc, v27, v21
	v_addc_co_u32_e32 v19, vcc, 0, v19, vcc
	v_mul_hi_u32 v28, v3, v25
	v_mul_lo_u32 v25, v3, v25
	v_add_co_u32_e32 v21, vcc, v21, v25
	v_mul_hi_u32 v27, v3, v15
	v_addc_co_u32_e32 v19, vcc, v19, v28, vcc
	v_addc_co_u32_e32 v21, vcc, 0, v27, vcc
	v_mul_lo_u32 v15, v3, v15
	v_add_co_u32_e32 v15, vcc, v19, v15
	v_addc_co_u32_e32 v19, vcc, 0, v21, vcc
	v_add_co_u32_e32 v1, vcc, v1, v15
	v_addc_co_u32_e32 v3, vcc, v3, v19, vcc
	v_mul_lo_u32 v15, s8, v3
	v_mul_hi_u32 v19, s8, v1
	v_add_u32_e32 v15, v19, v15
	v_mul_lo_u32 v19, s9, v1
	v_add_u32_e32 v15, v15, v19
	v_mul_lo_u32 v21, s8, v1
	v_mul_hi_u32 v25, v3, v21
	v_mul_lo_u32 v27, v3, v21
	v_mul_lo_u32 v29, v1, v15
	v_mul_hi_u32 v21, v1, v21
	v_mul_hi_u32 v28, v1, v15
	v_add_co_u32_e32 v21, vcc, v21, v29
	v_addc_co_u32_e32 v28, vcc, 0, v28, vcc
	v_add_co_u32_e32 v21, vcc, v21, v27
	v_mul_hi_u32 v19, v3, v15
	v_addc_co_u32_e32 v21, vcc, v28, v25, vcc
	v_addc_co_u32_e32 v19, vcc, 0, v19, vcc
	v_mul_lo_u32 v15, v3, v15
	v_add_co_u32_e32 v15, vcc, v21, v15
	v_addc_co_u32_e32 v19, vcc, 0, v19, vcc
	v_add_co_u32_e32 v1, vcc, v1, v15
	v_addc_co_u32_e32 v3, vcc, v3, v19, vcc
	v_ashrrev_i32_e32 v15, 31, v23
	v_add_co_u32_e32 v19, vcc, v22, v15
	v_xor_b32_e32 v19, v19, v15
	v_addc_co_u32_e32 v21, vcc, v23, v15, vcc
	v_mad_u64_u32 v[22:23], s[8:9], v19, v3, 0
	v_mul_hi_u32 v25, v19, v1
	v_xor_b32_e32 v21, v21, v15
	v_add_co_u32_e32 v25, vcc, v25, v22
	v_addc_co_u32_e32 v27, vcc, 0, v23, vcc
	v_mad_u64_u32 v[28:29], s[8:9], v21, v1, 0
	v_add_co_u32_e32 v1, vcc, v25, v28
	v_mad_u64_u32 v[22:23], s[8:9], v21, v3, 0
	v_addc_co_u32_e32 v1, vcc, v27, v29, vcc
	v_addc_co_u32_e32 v3, vcc, 0, v23, vcc
	v_add_co_u32_e32 v1, vcc, v1, v22
	v_addc_co_u32_e32 v3, vcc, 0, v3, vcc
	v_mul_lo_u32 v25, s51, v1
	v_mul_lo_u32 v3, s50, v3
	v_mad_u64_u32 v[22:23], s[8:9], s50, v1, 0
	v_add3_u32 v3, v23, v3, v25
	v_sub_u32_e32 v23, v21, v3
	v_mov_b32_e32 v25, s51
	v_sub_co_u32_e32 v19, vcc, v19, v22
	v_subb_co_u32_e64 v22, s[8:9], v23, v25, vcc
	v_subrev_co_u32_e64 v23, s[8:9], s50, v19
	v_subbrev_co_u32_e64 v22, s[8:9], 0, v22, s[8:9]
	v_cmp_le_u32_e64 s[8:9], s51, v22
	v_subb_co_u32_e32 v3, vcc, v21, v3, vcc
	v_cndmask_b32_e64 v25, 0, -1, s[8:9]
	v_cmp_le_u32_e64 s[8:9], s50, v23
	v_cmp_le_u32_e32 vcc, s51, v3
	v_cndmask_b32_e64 v23, 0, -1, s[8:9]
	v_cmp_eq_u32_e64 s[8:9], s51, v22
	v_cndmask_b32_e64 v21, 0, -1, vcc
	v_cmp_le_u32_e32 vcc, s50, v19
	v_cndmask_b32_e64 v22, v25, v23, s[8:9]
	v_cndmask_b32_e64 v19, 0, -1, vcc
	v_cmp_eq_u32_e32 vcc, s51, v3
	v_add_co_u32_e64 v23, s[8:9], 2, v1
	v_add_co_u32_e64 v25, s[8:9], 1, v1
	v_cndmask_b32_e32 v3, v21, v19, vcc
	v_cmp_ne_u32_e32 vcc, 0, v22
	v_cndmask_b32_e32 v19, v25, v23, vcc
	v_cmp_ne_u32_e32 vcc, 0, v3
	v_cndmask_b32_e32 v1, v1, v19, vcc
	v_xor_b32_e32 v3, s48, v15
	v_xor_b32_e32 v1, v1, v3
	v_sub_co_u32_e32 v28, vcc, v1, v3
                                        ; implicit-def: $vgpr15
                                        ; implicit-def: $vgpr22_vgpr23
.LBB9_65:                               ;   in Loop: Header=BB9_54 Depth=4
	s_andn2_saveexec_b64 s[8:9], s[46:47]
	s_cbranch_execz .LBB9_67
; %bb.66:                               ;   in Loop: Header=BB9_54 Depth=4
	v_rcp_iflag_f32_e32 v1, v15
	s_sub_i32 s29, 0, s59
	v_mul_f32_e32 v1, 0x4f7ffffe, v1
	v_cvt_u32_f32_e32 v1, v1
	v_mul_lo_u32 v3, s29, v1
	v_mul_hi_u32 v3, v1, v3
	v_add_u32_e32 v1, v1, v3
	v_mul_hi_u32 v1, v22, v1
	v_mul_lo_u32 v3, v1, s59
	v_sub_u32_e32 v3, v22, v3
	v_add_u32_e32 v15, 1, v1
	v_subrev_u32_e32 v19, s59, v3
	v_cmp_le_u32_e32 vcc, s59, v3
	v_cndmask_b32_e32 v3, v3, v19, vcc
	v_cndmask_b32_e32 v1, v1, v15, vcc
	v_add_u32_e32 v15, 1, v1
	v_cmp_le_u32_e32 vcc, s59, v3
	v_cndmask_b32_e32 v28, v1, v15, vcc
.LBB9_67:                               ;   in Loop: Header=BB9_54 Depth=4
	s_or_b64 exec, exec, s[8:9]
	global_load_dword v3, v[10:11], off
	v_ashrrev_i32_e32 v19, 31, v18
	v_lshlrev_b64 v[22:23], 2, v[18:19]
	v_mov_b32_e32 v1, s37
	v_add_co_u32_e32 v22, vcc, s36, v22
	v_mad_u64_u32 v[26:27], s[8:9], v26, s21, v[28:29]
	v_addc_co_u32_e32 v23, vcc, v1, v23, vcc
	v_sub_u32_e32 v1, v24, v26
	v_mul_lo_u32 v1, v9, v1
	v_add_u32_e32 v24, v1, v9
	s_mov_b64 s[46:47], 0
	v_pk_mov_b32 v[26:27], v[16:17], v[16:17] op_sel:[0,1]
	v_pk_mov_b32 v[28:29], v[12:13], v[12:13] op_sel:[0,1]
	s_branch .LBB9_69
.LBB9_68:                               ;   in Loop: Header=BB9_69 Depth=5
	s_or_b64 exec, exec, s[8:9]
	global_load_dword v1, v[22:23], off
	v_mad_u64_u32 v[32:33], s[8:9], v32, s54, v[36:37]
	v_sub_u32_e32 v15, v30, v32
	v_mad_u64_u32 v[30:31], s[8:9], v24, v15, v[24:25]
	v_cvt_f32_i32_e32 v15, v30
	v_add_co_u32_e32 v28, vcc, 1, v28
	v_addc_co_u32_e32 v29, vcc, 0, v29, vcc
	v_add_co_u32_e32 v22, vcc, 4, v22
	v_addc_co_u32_e32 v23, vcc, 0, v23, vcc
	v_cmp_ge_i32_e32 vcc, v28, v7
	s_or_b64 s[46:47], vcc, s[46:47]
	v_mov_b32_e32 v19, s33
	s_waitcnt vmcnt(0)
	v_div_scale_f32 v21, s[8:9], v15, v15, v1
	v_rcp_f32_e32 v25, v21
	v_div_scale_f32 v30, vcc, v1, v15, v1
	v_fma_f32 v31, -v21, v25, 1.0
	v_fmac_f32_e32 v25, v31, v25
	v_mul_f32_e32 v31, v30, v25
	v_fma_f32 v32, -v21, v31, v30
	v_fmac_f32_e32 v31, v32, v25
	v_fma_f32 v21, -v21, v31, v30
	v_div_fmas_f32 v21, v21, v25, v31
	v_div_fixup_f32 v1, v21, v15, v1
	v_add_co_u32_e32 v26, vcc, s54, v26
	v_add_f32_e32 v3, v3, v1
	v_addc_co_u32_e32 v27, vcc, v27, v19, vcc
	global_store_dword v[10:11], v3, off
	s_andn2_b64 exec, exec, s[46:47]
	s_cbranch_execz .LBB9_53
.LBB9_69:                               ;   Parent Loop BB9_12 Depth=1
                                        ;     Parent Loop BB9_27 Depth=2
                                        ;       Parent Loop BB9_42 Depth=3
                                        ;         Parent Loop BB9_54 Depth=4
                                        ; =>        This Inner Loop Header: Depth=5
	v_or_b32_e32 v1, s60, v27
	v_cmp_ne_u64_e32 vcc, 0, v[0:1]
                                        ; implicit-def: $vgpr30_vgpr31
	s_and_saveexec_b64 s[8:9], vcc
	s_xor_b64 s[48:49], exec, s[8:9]
	s_cbranch_execz .LBB9_71
; %bb.70:                               ;   in Loop: Header=BB9_69 Depth=5
	s_add_u32 s8, s61, s60
	s_mov_b32 s50, s60
	s_mov_b32 s51, s60
	s_addc_u32 s9, s60, s60
	s_xor_b64 s[52:53], s[8:9], s[50:51]
	v_cvt_f32_u32_e32 v1, s52
	v_cvt_f32_u32_e32 v15, s53
	s_sub_u32 s8, 0, s52
	s_subb_u32 s9, 0, s53
	v_mac_f32_e32 v1, 0x4f800000, v15
	v_rcp_f32_e32 v1, v1
	v_mul_f32_e32 v1, 0x5f7ffffc, v1
	v_mul_f32_e32 v15, 0x2f800000, v1
	v_trunc_f32_e32 v15, v15
	v_mac_f32_e32 v1, 0xcf800000, v15
	v_cvt_u32_f32_e32 v15, v15
	v_cvt_u32_f32_e32 v1, v1
	v_mul_lo_u32 v19, s8, v15
	v_mul_hi_u32 v25, s8, v1
	v_mul_lo_u32 v21, s9, v1
	v_add_u32_e32 v19, v25, v19
	v_mul_lo_u32 v30, s8, v1
	v_add_u32_e32 v19, v19, v21
	v_mul_lo_u32 v25, v1, v19
	v_mul_hi_u32 v31, v1, v30
	v_mul_hi_u32 v21, v1, v19
	v_add_co_u32_e32 v25, vcc, v31, v25
	v_addc_co_u32_e32 v21, vcc, 0, v21, vcc
	v_mul_hi_u32 v32, v15, v30
	v_mul_lo_u32 v30, v15, v30
	v_add_co_u32_e32 v25, vcc, v25, v30
	v_mul_hi_u32 v31, v15, v19
	v_addc_co_u32_e32 v21, vcc, v21, v32, vcc
	v_addc_co_u32_e32 v25, vcc, 0, v31, vcc
	v_mul_lo_u32 v19, v15, v19
	v_add_co_u32_e32 v19, vcc, v21, v19
	v_addc_co_u32_e32 v21, vcc, 0, v25, vcc
	v_add_co_u32_e32 v1, vcc, v1, v19
	v_addc_co_u32_e32 v15, vcc, v15, v21, vcc
	v_mul_lo_u32 v19, s8, v15
	v_mul_hi_u32 v21, s8, v1
	v_add_u32_e32 v19, v21, v19
	v_mul_lo_u32 v21, s9, v1
	v_add_u32_e32 v19, v19, v21
	v_mul_lo_u32 v25, s8, v1
	v_mul_hi_u32 v30, v15, v25
	v_mul_lo_u32 v31, v15, v25
	v_mul_lo_u32 v33, v1, v19
	v_mul_hi_u32 v25, v1, v25
	v_mul_hi_u32 v32, v1, v19
	v_add_co_u32_e32 v25, vcc, v25, v33
	v_addc_co_u32_e32 v32, vcc, 0, v32, vcc
	v_add_co_u32_e32 v25, vcc, v25, v31
	v_mul_hi_u32 v21, v15, v19
	v_addc_co_u32_e32 v25, vcc, v32, v30, vcc
	v_addc_co_u32_e32 v21, vcc, 0, v21, vcc
	v_mul_lo_u32 v19, v15, v19
	v_add_co_u32_e32 v19, vcc, v25, v19
	v_addc_co_u32_e32 v21, vcc, 0, v21, vcc
	v_add_co_u32_e32 v1, vcc, v1, v19
	v_addc_co_u32_e32 v15, vcc, v15, v21, vcc
	v_ashrrev_i32_e32 v19, 31, v27
	v_add_co_u32_e32 v21, vcc, v26, v19
	v_xor_b32_e32 v21, v21, v19
	v_addc_co_u32_e32 v25, vcc, v27, v19, vcc
	v_mad_u64_u32 v[30:31], s[8:9], v21, v15, 0
	v_mul_hi_u32 v32, v21, v1
	v_xor_b32_e32 v25, v25, v19
	v_add_co_u32_e32 v34, vcc, v32, v30
	v_addc_co_u32_e32 v35, vcc, 0, v31, vcc
	v_mad_u64_u32 v[32:33], s[8:9], v25, v1, 0
	v_add_co_u32_e32 v1, vcc, v34, v32
	v_mad_u64_u32 v[30:31], s[8:9], v25, v15, 0
	v_addc_co_u32_e32 v1, vcc, v35, v33, vcc
	v_addc_co_u32_e32 v15, vcc, 0, v31, vcc
	v_add_co_u32_e32 v1, vcc, v1, v30
	v_addc_co_u32_e32 v15, vcc, 0, v15, vcc
	v_mul_lo_u32 v32, s53, v1
	v_mul_lo_u32 v15, s52, v15
	v_mad_u64_u32 v[30:31], s[8:9], s52, v1, 0
	v_add3_u32 v15, v31, v15, v32
	v_sub_u32_e32 v31, v25, v15
	v_mov_b32_e32 v32, s53
	v_sub_co_u32_e32 v21, vcc, v21, v30
	v_subb_co_u32_e64 v30, s[8:9], v31, v32, vcc
	v_subrev_co_u32_e64 v31, s[8:9], s52, v21
	v_subbrev_co_u32_e64 v30, s[8:9], 0, v30, s[8:9]
	v_cmp_le_u32_e64 s[8:9], s53, v30
	v_subb_co_u32_e32 v15, vcc, v25, v15, vcc
	v_cndmask_b32_e64 v32, 0, -1, s[8:9]
	v_cmp_le_u32_e64 s[8:9], s52, v31
	v_cmp_le_u32_e32 vcc, s53, v15
	v_cndmask_b32_e64 v31, 0, -1, s[8:9]
	v_cmp_eq_u32_e64 s[8:9], s53, v30
	v_cndmask_b32_e64 v25, 0, -1, vcc
	v_cmp_le_u32_e32 vcc, s52, v21
	v_cndmask_b32_e64 v30, v32, v31, s[8:9]
	v_cndmask_b32_e64 v21, 0, -1, vcc
	v_cmp_eq_u32_e32 vcc, s53, v15
	v_add_co_u32_e64 v31, s[8:9], 2, v1
	v_add_co_u32_e64 v32, s[8:9], 1, v1
	v_cndmask_b32_e32 v15, v25, v21, vcc
	v_cmp_ne_u32_e32 vcc, 0, v30
	v_cndmask_b32_e32 v21, v32, v31, vcc
	v_cmp_ne_u32_e32 vcc, 0, v15
	v_cndmask_b32_e32 v1, v1, v21, vcc
	v_xor_b32_e32 v15, s50, v19
	v_xor_b32_e32 v1, v1, v15
	v_sub_co_u32_e32 v30, vcc, v1, v15
.LBB9_71:                               ;   in Loop: Header=BB9_69 Depth=5
	s_or_saveexec_b64 s[8:9], s[48:49]
	v_cvt_f32_u32_e32 v15, s61
	s_xor_b64 exec, exec, s[8:9]
	s_cbranch_execz .LBB9_73
; %bb.72:                               ;   in Loop: Header=BB9_69 Depth=5
	v_rcp_iflag_f32_e32 v1, v15
	s_sub_i32 s29, 0, s61
	v_mul_f32_e32 v1, 0x4f7ffffe, v1
	v_cvt_u32_f32_e32 v1, v1
	v_mul_lo_u32 v19, s29, v1
	v_mul_hi_u32 v19, v1, v19
	v_add_u32_e32 v1, v1, v19
	v_mul_hi_u32 v1, v26, v1
	v_mul_lo_u32 v19, v1, s61
	v_sub_u32_e32 v19, v26, v19
	v_add_u32_e32 v21, 1, v1
	v_subrev_u32_e32 v25, s61, v19
	v_cmp_le_u32_e32 vcc, s61, v19
	v_cndmask_b32_e32 v19, v19, v25, vcc
	v_cndmask_b32_e32 v1, v1, v21, vcc
	v_add_u32_e32 v21, 1, v1
	v_cmp_le_u32_e32 vcc, s61, v19
	v_cndmask_b32_e32 v30, v1, v21, vcc
.LBB9_73:                               ;   in Loop: Header=BB9_69 Depth=5
	s_or_b64 exec, exec, s[8:9]
	v_or_b32_e32 v1, s60, v29
	v_cmp_ne_u64_e32 vcc, 0, v[0:1]
                                        ; implicit-def: $vgpr32_vgpr33
	s_and_saveexec_b64 s[8:9], vcc
	s_xor_b64 s[48:49], exec, s[8:9]
	s_cbranch_execz .LBB9_75
; %bb.74:                               ;   in Loop: Header=BB9_69 Depth=5
	s_add_u32 s8, s61, s60
	s_mov_b32 s50, s60
	s_mov_b32 s51, s60
	s_addc_u32 s9, s60, s60
	s_xor_b64 s[52:53], s[8:9], s[50:51]
	v_cvt_f32_u32_e32 v1, s52
	v_cvt_f32_u32_e32 v19, s53
	s_sub_u32 s8, 0, s52
	s_subb_u32 s9, 0, s53
	v_mac_f32_e32 v1, 0x4f800000, v19
	v_rcp_f32_e32 v1, v1
	v_mul_f32_e32 v1, 0x5f7ffffc, v1
	v_mul_f32_e32 v19, 0x2f800000, v1
	v_trunc_f32_e32 v19, v19
	v_mac_f32_e32 v1, 0xcf800000, v19
	v_cvt_u32_f32_e32 v19, v19
	v_cvt_u32_f32_e32 v1, v1
	v_mul_lo_u32 v21, s8, v19
	v_mul_hi_u32 v31, s8, v1
	v_mul_lo_u32 v25, s9, v1
	v_add_u32_e32 v21, v31, v21
	v_mul_lo_u32 v32, s8, v1
	v_add_u32_e32 v21, v21, v25
	v_mul_lo_u32 v31, v1, v21
	v_mul_hi_u32 v33, v1, v32
	v_mul_hi_u32 v25, v1, v21
	v_add_co_u32_e32 v31, vcc, v33, v31
	v_addc_co_u32_e32 v25, vcc, 0, v25, vcc
	v_mul_hi_u32 v34, v19, v32
	v_mul_lo_u32 v32, v19, v32
	v_add_co_u32_e32 v31, vcc, v31, v32
	v_mul_hi_u32 v33, v19, v21
	v_addc_co_u32_e32 v25, vcc, v25, v34, vcc
	v_addc_co_u32_e32 v31, vcc, 0, v33, vcc
	v_mul_lo_u32 v21, v19, v21
	v_add_co_u32_e32 v21, vcc, v25, v21
	v_addc_co_u32_e32 v25, vcc, 0, v31, vcc
	v_add_co_u32_e32 v1, vcc, v1, v21
	v_addc_co_u32_e32 v19, vcc, v19, v25, vcc
	v_mul_lo_u32 v21, s8, v19
	v_mul_hi_u32 v25, s8, v1
	v_add_u32_e32 v21, v25, v21
	v_mul_lo_u32 v25, s9, v1
	v_add_u32_e32 v21, v21, v25
	v_mul_lo_u32 v31, s8, v1
	v_mul_hi_u32 v32, v19, v31
	v_mul_lo_u32 v33, v19, v31
	v_mul_lo_u32 v35, v1, v21
	v_mul_hi_u32 v31, v1, v31
	v_mul_hi_u32 v34, v1, v21
	v_add_co_u32_e32 v31, vcc, v31, v35
	v_addc_co_u32_e32 v34, vcc, 0, v34, vcc
	v_add_co_u32_e32 v31, vcc, v31, v33
	v_mul_hi_u32 v25, v19, v21
	v_addc_co_u32_e32 v31, vcc, v34, v32, vcc
	v_addc_co_u32_e32 v25, vcc, 0, v25, vcc
	v_mul_lo_u32 v21, v19, v21
	v_add_co_u32_e32 v21, vcc, v31, v21
	v_addc_co_u32_e32 v25, vcc, 0, v25, vcc
	v_add_co_u32_e32 v1, vcc, v1, v21
	v_addc_co_u32_e32 v19, vcc, v19, v25, vcc
	v_ashrrev_i32_e32 v21, 31, v29
	v_add_co_u32_e32 v25, vcc, v28, v21
	v_xor_b32_e32 v25, v25, v21
	v_addc_co_u32_e32 v31, vcc, v29, v21, vcc
	v_mad_u64_u32 v[32:33], s[8:9], v25, v19, 0
	v_mul_hi_u32 v34, v25, v1
	v_xor_b32_e32 v31, v31, v21
	v_add_co_u32_e32 v36, vcc, v34, v32
	v_addc_co_u32_e32 v37, vcc, 0, v33, vcc
	v_mad_u64_u32 v[34:35], s[8:9], v31, v1, 0
	v_add_co_u32_e32 v1, vcc, v36, v34
	v_mad_u64_u32 v[32:33], s[8:9], v31, v19, 0
	v_addc_co_u32_e32 v1, vcc, v37, v35, vcc
	v_addc_co_u32_e32 v19, vcc, 0, v33, vcc
	v_add_co_u32_e32 v1, vcc, v1, v32
	v_addc_co_u32_e32 v19, vcc, 0, v19, vcc
	v_mul_lo_u32 v34, s53, v1
	v_mul_lo_u32 v35, s52, v19
	v_mad_u64_u32 v[32:33], s[8:9], s52, v1, 0
	v_add3_u32 v33, v33, v35, v34
	v_sub_u32_e32 v34, v31, v33
	v_mov_b32_e32 v35, s53
	v_sub_co_u32_e32 v25, vcc, v25, v32
	v_subb_co_u32_e64 v32, s[8:9], v34, v35, vcc
	v_subrev_co_u32_e64 v34, s[8:9], s52, v25
	v_subbrev_co_u32_e64 v32, s[8:9], 0, v32, s[8:9]
	v_cmp_le_u32_e64 s[8:9], s53, v32
	v_cndmask_b32_e64 v35, 0, -1, s[8:9]
	v_cmp_le_u32_e64 s[8:9], s52, v34
	v_cndmask_b32_e64 v34, 0, -1, s[8:9]
	v_cmp_eq_u32_e64 s[8:9], s53, v32
	v_cndmask_b32_e64 v32, v35, v34, s[8:9]
	v_add_co_u32_e64 v34, s[8:9], 2, v1
	v_subb_co_u32_e32 v31, vcc, v31, v33, vcc
	v_addc_co_u32_e64 v35, s[8:9], 0, v19, s[8:9]
	v_cmp_le_u32_e32 vcc, s53, v31
	v_add_co_u32_e64 v36, s[8:9], 1, v1
	v_cndmask_b32_e64 v33, 0, -1, vcc
	v_cmp_le_u32_e32 vcc, s52, v25
	v_addc_co_u32_e64 v37, s[8:9], 0, v19, s[8:9]
	v_cndmask_b32_e64 v25, 0, -1, vcc
	v_cmp_eq_u32_e32 vcc, s53, v31
	v_cmp_ne_u32_e64 s[8:9], 0, v32
	v_cndmask_b32_e32 v25, v33, v25, vcc
	v_cmp_ne_u32_e32 vcc, 0, v25
	v_cndmask_b32_e64 v25, v36, v34, s[8:9]
	v_cndmask_b32_e64 v32, v37, v35, s[8:9]
	v_cndmask_b32_e32 v1, v1, v25, vcc
	v_xor_b32_e32 v25, s51, v21
	v_xor_b32_e32 v21, s50, v21
	v_cndmask_b32_e32 v19, v19, v32, vcc
	v_xor_b32_e32 v1, v1, v21
	v_xor_b32_e32 v19, v19, v25
	v_sub_co_u32_e32 v32, vcc, v1, v21
	v_subb_co_u32_e32 v33, vcc, v19, v25, vcc
.LBB9_75:                               ;   in Loop: Header=BB9_69 Depth=5
	s_andn2_saveexec_b64 s[8:9], s[48:49]
	s_cbranch_execz .LBB9_77
; %bb.76:                               ;   in Loop: Header=BB9_69 Depth=5
	v_rcp_iflag_f32_e32 v1, v15
	s_sub_i32 s29, 0, s61
	v_mov_b32_e32 v33, v0
	v_mul_f32_e32 v1, 0x4f7ffffe, v1
	v_cvt_u32_f32_e32 v1, v1
	v_mul_lo_u32 v19, s29, v1
	v_mul_hi_u32 v19, v1, v19
	v_add_u32_e32 v1, v1, v19
	v_mul_hi_u32 v1, v28, v1
	v_mul_lo_u32 v19, v1, s61
	v_sub_u32_e32 v19, v28, v19
	v_add_u32_e32 v21, 1, v1
	v_subrev_u32_e32 v25, s61, v19
	v_cmp_le_u32_e32 vcc, s61, v19
	v_cndmask_b32_e32 v19, v19, v25, vcc
	v_cndmask_b32_e32 v1, v1, v21, vcc
	v_add_u32_e32 v21, 1, v1
	v_cmp_le_u32_e32 vcc, s61, v19
	v_cndmask_b32_e32 v32, v1, v21, vcc
.LBB9_77:                               ;   in Loop: Header=BB9_69 Depth=5
	s_or_b64 exec, exec, s[8:9]
	v_mul_lo_u32 v1, v33, s61
	v_mul_lo_u32 v19, v32, s60
	v_mad_u64_u32 v[34:35], s[8:9], v32, s61, 0
	v_add3_u32 v1, v35, v19, v1
	v_sub_co_u32_e32 v19, vcc, v28, v34
	v_subb_co_u32_e32 v1, vcc, v29, v1, vcc
	v_mul_lo_u32 v1, v1, s54
	v_mul_lo_u32 v21, v19, s33
	v_mad_u64_u32 v[34:35], s[8:9], v19, s54, 0
	v_add3_u32 v35, v35, v21, v1
	v_or_b32_e32 v1, s60, v35
	v_cmp_ne_u64_e32 vcc, 0, v[0:1]
                                        ; implicit-def: $vgpr36_vgpr37
	s_and_saveexec_b64 s[8:9], vcc
	s_xor_b64 s[48:49], exec, s[8:9]
	s_cbranch_execz .LBB9_79
; %bb.78:                               ;   in Loop: Header=BB9_69 Depth=5
	s_add_u32 s8, s61, s60
	s_mov_b32 s50, s60
	s_mov_b32 s51, s60
	s_addc_u32 s9, s60, s60
	s_xor_b64 s[52:53], s[8:9], s[50:51]
	v_cvt_f32_u32_e32 v1, s52
	v_cvt_f32_u32_e32 v15, s53
	s_sub_u32 s8, 0, s52
	s_subb_u32 s9, 0, s53
	v_mac_f32_e32 v1, 0x4f800000, v15
	v_rcp_f32_e32 v1, v1
	v_mul_f32_e32 v1, 0x5f7ffffc, v1
	v_mul_f32_e32 v15, 0x2f800000, v1
	v_trunc_f32_e32 v15, v15
	v_mac_f32_e32 v1, 0xcf800000, v15
	v_cvt_u32_f32_e32 v15, v15
	v_cvt_u32_f32_e32 v1, v1
	v_mul_lo_u32 v19, s8, v15
	v_mul_hi_u32 v25, s8, v1
	v_mul_lo_u32 v21, s9, v1
	v_add_u32_e32 v19, v25, v19
	v_mul_lo_u32 v31, s8, v1
	v_add_u32_e32 v19, v19, v21
	v_mul_lo_u32 v25, v1, v19
	v_mul_hi_u32 v33, v1, v31
	v_mul_hi_u32 v21, v1, v19
	v_add_co_u32_e32 v25, vcc, v33, v25
	v_addc_co_u32_e32 v21, vcc, 0, v21, vcc
	v_mul_hi_u32 v36, v15, v31
	v_mul_lo_u32 v31, v15, v31
	v_add_co_u32_e32 v25, vcc, v25, v31
	v_mul_hi_u32 v33, v15, v19
	v_addc_co_u32_e32 v21, vcc, v21, v36, vcc
	v_addc_co_u32_e32 v25, vcc, 0, v33, vcc
	v_mul_lo_u32 v19, v15, v19
	v_add_co_u32_e32 v19, vcc, v21, v19
	v_addc_co_u32_e32 v21, vcc, 0, v25, vcc
	v_add_co_u32_e32 v1, vcc, v1, v19
	v_addc_co_u32_e32 v15, vcc, v15, v21, vcc
	v_mul_lo_u32 v19, s8, v15
	v_mul_hi_u32 v21, s8, v1
	v_add_u32_e32 v19, v21, v19
	v_mul_lo_u32 v21, s9, v1
	v_add_u32_e32 v19, v19, v21
	v_mul_lo_u32 v25, s8, v1
	v_mul_hi_u32 v31, v15, v25
	v_mul_lo_u32 v33, v15, v25
	v_mul_lo_u32 v37, v1, v19
	v_mul_hi_u32 v25, v1, v25
	v_mul_hi_u32 v36, v1, v19
	v_add_co_u32_e32 v25, vcc, v25, v37
	v_addc_co_u32_e32 v36, vcc, 0, v36, vcc
	v_add_co_u32_e32 v25, vcc, v25, v33
	v_mul_hi_u32 v21, v15, v19
	v_addc_co_u32_e32 v25, vcc, v36, v31, vcc
	v_addc_co_u32_e32 v21, vcc, 0, v21, vcc
	v_mul_lo_u32 v19, v15, v19
	v_add_co_u32_e32 v19, vcc, v25, v19
	v_addc_co_u32_e32 v21, vcc, 0, v21, vcc
	v_add_co_u32_e32 v1, vcc, v1, v19
	v_addc_co_u32_e32 v15, vcc, v15, v21, vcc
	v_ashrrev_i32_e32 v19, 31, v35
	v_add_co_u32_e32 v21, vcc, v34, v19
	v_xor_b32_e32 v21, v21, v19
	v_addc_co_u32_e32 v25, vcc, v35, v19, vcc
	v_mad_u64_u32 v[34:35], s[8:9], v21, v15, 0
	v_mul_hi_u32 v31, v21, v1
	v_xor_b32_e32 v25, v25, v19
	v_add_co_u32_e32 v31, vcc, v31, v34
	v_addc_co_u32_e32 v33, vcc, 0, v35, vcc
	v_mad_u64_u32 v[36:37], s[8:9], v25, v1, 0
	v_add_co_u32_e32 v1, vcc, v31, v36
	v_mad_u64_u32 v[34:35], s[8:9], v25, v15, 0
	v_addc_co_u32_e32 v1, vcc, v33, v37, vcc
	v_addc_co_u32_e32 v15, vcc, 0, v35, vcc
	v_add_co_u32_e32 v1, vcc, v1, v34
	v_addc_co_u32_e32 v15, vcc, 0, v15, vcc
	v_mul_lo_u32 v31, s53, v1
	v_mul_lo_u32 v15, s52, v15
	v_mad_u64_u32 v[34:35], s[8:9], s52, v1, 0
	v_add3_u32 v15, v35, v15, v31
	v_sub_u32_e32 v31, v25, v15
	v_mov_b32_e32 v33, s53
	v_sub_co_u32_e32 v21, vcc, v21, v34
	v_subb_co_u32_e64 v31, s[8:9], v31, v33, vcc
	v_subrev_co_u32_e64 v33, s[8:9], s52, v21
	v_subbrev_co_u32_e64 v31, s[8:9], 0, v31, s[8:9]
	v_cmp_le_u32_e64 s[8:9], s53, v31
	v_subb_co_u32_e32 v15, vcc, v25, v15, vcc
	v_cndmask_b32_e64 v34, 0, -1, s[8:9]
	v_cmp_le_u32_e64 s[8:9], s52, v33
	v_cmp_le_u32_e32 vcc, s53, v15
	v_cndmask_b32_e64 v33, 0, -1, s[8:9]
	v_cmp_eq_u32_e64 s[8:9], s53, v31
	v_cndmask_b32_e64 v25, 0, -1, vcc
	v_cmp_le_u32_e32 vcc, s52, v21
	v_cndmask_b32_e64 v31, v34, v33, s[8:9]
	v_cndmask_b32_e64 v21, 0, -1, vcc
	v_cmp_eq_u32_e32 vcc, s53, v15
	v_add_co_u32_e64 v33, s[8:9], 2, v1
	v_add_co_u32_e64 v34, s[8:9], 1, v1
	v_cndmask_b32_e32 v15, v25, v21, vcc
	v_cmp_ne_u32_e32 vcc, 0, v31
	v_cndmask_b32_e32 v21, v34, v33, vcc
	v_cmp_ne_u32_e32 vcc, 0, v15
	v_cndmask_b32_e32 v1, v1, v21, vcc
	v_xor_b32_e32 v15, s50, v19
	v_xor_b32_e32 v1, v1, v15
	v_sub_co_u32_e32 v36, vcc, v1, v15
                                        ; implicit-def: $vgpr15
                                        ; implicit-def: $vgpr34_vgpr35
.LBB9_79:                               ;   in Loop: Header=BB9_69 Depth=5
	s_andn2_saveexec_b64 s[8:9], s[48:49]
	s_cbranch_execz .LBB9_68
; %bb.80:                               ;   in Loop: Header=BB9_69 Depth=5
	v_rcp_iflag_f32_e32 v1, v15
	s_sub_i32 s29, 0, s61
	v_mul_f32_e32 v1, 0x4f7ffffe, v1
	v_cvt_u32_f32_e32 v1, v1
	v_mul_lo_u32 v15, s29, v1
	v_mul_hi_u32 v15, v1, v15
	v_add_u32_e32 v1, v1, v15
	v_mul_hi_u32 v1, v34, v1
	v_mul_lo_u32 v15, v1, s61
	v_sub_u32_e32 v15, v34, v15
	v_add_u32_e32 v19, 1, v1
	v_subrev_u32_e32 v21, s61, v15
	v_cmp_le_u32_e32 vcc, s61, v15
	v_cndmask_b32_e32 v15, v15, v21, vcc
	v_cndmask_b32_e32 v1, v1, v19, vcc
	v_add_u32_e32 v19, 1, v1
	v_cmp_le_u32_e32 vcc, s61, v15
	v_cndmask_b32_e32 v36, v1, v19, vcc
	s_branch .LBB9_68
.LBB9_81:                               ;   in Loop: Header=BB9_42 Depth=3
                                        ; implicit-def: $vgpr18_vgpr19
	v_cvt_f32_u32_e32 v1, s18
	s_branch .LBB9_44
.LBB9_82:                               ;   in Loop: Header=BB9_42 Depth=3
                                        ; implicit-def: $sgpr42_sgpr43
	s_branch .LBB9_47
.LBB9_83:                               ;   in Loop: Header=BB9_42 Depth=3
                                        ; implicit-def: $vgpr20_vgpr21
	s_branch .LBB9_50
.LBB9_84:
	s_endpgm
.LBB9_85:
                                        ; implicit-def: $sgpr8_sgpr9
	v_cvt_f32_u32_e32 v1, s10
	s_branch .LBB9_2
.LBB9_86:
                                        ; implicit-def: $sgpr20_sgpr21
	s_branch .LBB9_5
.LBB9_87:
                                        ; implicit-def: $vgpr4_vgpr5
	s_load_dword s0, s[4:5], 0x3c
	s_andn2_b64 vcc, exec, s[24:25]
	s_cbranch_vccz .LBB9_8
	s_branch .LBB9_9
	.section	.rodata,"a",@progbits
	.p2align	6, 0x0
	.amdhsa_kernel _ZN2at6native12_GLOBAL__N_124adaptiveaveragegradinputIffEEvPT_PKS3_iiiiiil
		.amdhsa_group_segment_fixed_size 0
		.amdhsa_private_segment_fixed_size 0
		.amdhsa_kernarg_size 304
		.amdhsa_user_sgpr_count 6
		.amdhsa_user_sgpr_private_segment_buffer 1
		.amdhsa_user_sgpr_dispatch_ptr 0
		.amdhsa_user_sgpr_queue_ptr 0
		.amdhsa_user_sgpr_kernarg_segment_ptr 1
		.amdhsa_user_sgpr_dispatch_id 0
		.amdhsa_user_sgpr_flat_scratch_init 0
		.amdhsa_user_sgpr_kernarg_preload_length 0
		.amdhsa_user_sgpr_kernarg_preload_offset 0
		.amdhsa_user_sgpr_private_segment_size 0
		.amdhsa_uses_dynamic_stack 0
		.amdhsa_system_sgpr_private_segment_wavefront_offset 0
		.amdhsa_system_sgpr_workgroup_id_x 1
		.amdhsa_system_sgpr_workgroup_id_y 1
		.amdhsa_system_sgpr_workgroup_id_z 0
		.amdhsa_system_sgpr_workgroup_info 0
		.amdhsa_system_vgpr_workitem_id 1
		.amdhsa_next_free_vgpr 44
		.amdhsa_next_free_sgpr 64
		.amdhsa_accum_offset 44
		.amdhsa_reserve_vcc 1
		.amdhsa_reserve_flat_scratch 0
		.amdhsa_float_round_mode_32 0
		.amdhsa_float_round_mode_16_64 0
		.amdhsa_float_denorm_mode_32 3
		.amdhsa_float_denorm_mode_16_64 3
		.amdhsa_dx10_clamp 1
		.amdhsa_ieee_mode 1
		.amdhsa_fp16_overflow 0
		.amdhsa_tg_split 0
		.amdhsa_exception_fp_ieee_invalid_op 0
		.amdhsa_exception_fp_denorm_src 0
		.amdhsa_exception_fp_ieee_div_zero 0
		.amdhsa_exception_fp_ieee_overflow 0
		.amdhsa_exception_fp_ieee_underflow 0
		.amdhsa_exception_fp_ieee_inexact 0
		.amdhsa_exception_int_div_zero 0
	.end_amdhsa_kernel
	.section	.text._ZN2at6native12_GLOBAL__N_124adaptiveaveragegradinputIffEEvPT_PKS3_iiiiiil,"axG",@progbits,_ZN2at6native12_GLOBAL__N_124adaptiveaveragegradinputIffEEvPT_PKS3_iiiiiil,comdat
.Lfunc_end9:
	.size	_ZN2at6native12_GLOBAL__N_124adaptiveaveragegradinputIffEEvPT_PKS3_iiiiiil, .Lfunc_end9-_ZN2at6native12_GLOBAL__N_124adaptiveaveragegradinputIffEEvPT_PKS3_iiiiiil
                                        ; -- End function
	.section	.AMDGPU.csdata,"",@progbits
; Kernel info:
; codeLenInByte = 14352
; NumSgprs: 68
; NumVgprs: 44
; NumAgprs: 0
; TotalNumVgprs: 44
; ScratchSize: 0
; MemoryBound: 0
; FloatMode: 240
; IeeeMode: 1
; LDSByteSize: 0 bytes/workgroup (compile time only)
; SGPRBlocks: 8
; VGPRBlocks: 5
; NumSGPRsForWavesPerEU: 68
; NumVGPRsForWavesPerEU: 44
; AccumOffset: 44
; Occupancy: 8
; WaveLimiterHint : 0
; COMPUTE_PGM_RSRC2:SCRATCH_EN: 0
; COMPUTE_PGM_RSRC2:USER_SGPR: 6
; COMPUTE_PGM_RSRC2:TRAP_HANDLER: 0
; COMPUTE_PGM_RSRC2:TGID_X_EN: 1
; COMPUTE_PGM_RSRC2:TGID_Y_EN: 1
; COMPUTE_PGM_RSRC2:TGID_Z_EN: 0
; COMPUTE_PGM_RSRC2:TIDIG_COMP_CNT: 1
; COMPUTE_PGM_RSRC3_GFX90A:ACCUM_OFFSET: 10
; COMPUTE_PGM_RSRC3_GFX90A:TG_SPLIT: 0
	.section	.text._ZN2at6native12_GLOBAL__N_124adaptiveaveragegradinputIN3c104HalfEfEEvPT_PKS5_iiiiiil,"axG",@progbits,_ZN2at6native12_GLOBAL__N_124adaptiveaveragegradinputIN3c104HalfEfEEvPT_PKS5_iiiiiil,comdat
	.globl	_ZN2at6native12_GLOBAL__N_124adaptiveaveragegradinputIN3c104HalfEfEEvPT_PKS5_iiiiiil ; -- Begin function _ZN2at6native12_GLOBAL__N_124adaptiveaveragegradinputIN3c104HalfEfEEvPT_PKS5_iiiiiil
	.p2align	8
	.type	_ZN2at6native12_GLOBAL__N_124adaptiveaveragegradinputIN3c104HalfEfEEvPT_PKS5_iiiiiil,@function
_ZN2at6native12_GLOBAL__N_124adaptiveaveragegradinputIN3c104HalfEfEEvPT_PKS5_iiiiiil: ; @_ZN2at6native12_GLOBAL__N_124adaptiveaveragegradinputIN3c104HalfEfEEvPT_PKS5_iiiiiil
; %bb.0:
	s_load_dwordx8 s[12:19], s[4:5], 0x10
	s_mov_b32 s0, 0
	s_waitcnt lgkmcnt(0)
	s_add_u32 s2, s6, s18
	s_addc_u32 s3, 0, s19
	s_ashr_i32 s11, s12, 31
	s_mov_b32 s10, s12
	s_or_b64 s[8:9], s[2:3], s[10:11]
	s_mov_b32 s1, s9
	s_cmp_lg_u64 s[0:1], 0
	s_cbranch_scc0 .LBB10_85
; %bb.1:
	s_add_u32 s0, s10, s11
	s_mov_b32 s8, s11
	s_mov_b32 s9, s11
	s_addc_u32 s1, s11, s11
	s_xor_b64 s[20:21], s[0:1], s[8:9]
	v_cvt_f32_u32_e32 v1, s20
	v_cvt_f32_u32_e32 v2, s21
	s_sub_u32 s0, 0, s20
	s_subb_u32 s1, 0, s21
	v_madmk_f32 v1, v2, 0x4f800000, v1
	v_rcp_f32_e32 v1, v1
	v_mul_f32_e32 v1, 0x5f7ffffc, v1
	v_mul_f32_e32 v2, 0x2f800000, v1
	v_trunc_f32_e32 v2, v2
	v_madmk_f32 v1, v2, 0xcf800000, v1
	v_cvt_u32_f32_e32 v2, v2
	v_cvt_u32_f32_e32 v1, v1
	v_readfirstlane_b32 s6, v2
	v_readfirstlane_b32 s12, v1
	s_mul_i32 s22, s0, s6
	s_mul_hi_u32 s24, s0, s12
	s_mul_i32 s23, s1, s12
	s_add_i32 s22, s24, s22
	s_add_i32 s22, s22, s23
	s_mul_i32 s25, s0, s12
	s_mul_hi_u32 s23, s12, s22
	s_mul_i32 s24, s12, s22
	s_mul_hi_u32 s12, s12, s25
	s_add_u32 s12, s12, s24
	s_addc_u32 s23, 0, s23
	s_mul_hi_u32 s26, s6, s25
	s_mul_i32 s25, s6, s25
	s_add_u32 s12, s12, s25
	s_mul_hi_u32 s24, s6, s22
	s_addc_u32 s12, s23, s26
	s_addc_u32 s23, s24, 0
	s_mul_i32 s22, s6, s22
	s_add_u32 s12, s12, s22
	s_addc_u32 s22, 0, s23
	v_add_co_u32_e32 v1, vcc, s12, v1
	s_cmp_lg_u64 vcc, 0
	s_addc_u32 s6, s6, s22
	v_readfirstlane_b32 s22, v1
	s_mul_i32 s12, s0, s6
	s_mul_hi_u32 s23, s0, s22
	s_add_i32 s12, s23, s12
	s_mul_i32 s1, s1, s22
	s_add_i32 s12, s12, s1
	s_mul_i32 s0, s0, s22
	s_mul_hi_u32 s23, s6, s0
	s_mul_i32 s24, s6, s0
	s_mul_i32 s26, s22, s12
	s_mul_hi_u32 s0, s22, s0
	s_mul_hi_u32 s25, s22, s12
	s_add_u32 s0, s0, s26
	s_addc_u32 s22, 0, s25
	s_add_u32 s0, s0, s24
	s_mul_hi_u32 s1, s6, s12
	s_addc_u32 s0, s22, s23
	s_addc_u32 s1, s1, 0
	s_mul_i32 s12, s6, s12
	s_add_u32 s0, s0, s12
	s_addc_u32 s1, 0, s1
	v_add_co_u32_e32 v1, vcc, s0, v1
	s_cmp_lg_u64 vcc, 0
	s_addc_u32 s6, s6, s1
	s_ashr_i32 s22, s3, 31
	s_add_u32 s0, s2, s22
	s_mov_b32 s23, s22
	s_addc_u32 s1, s3, s22
	s_xor_b64 s[24:25], s[0:1], s[22:23]
	v_readfirstlane_b32 s12, v1
	s_mul_i32 s1, s24, s6
	s_mul_hi_u32 s26, s24, s12
	s_mul_hi_u32 s0, s24, s6
	s_add_u32 s1, s26, s1
	s_addc_u32 s0, 0, s0
	s_mul_hi_u32 s27, s25, s12
	s_mul_i32 s12, s25, s12
	s_add_u32 s1, s1, s12
	s_mul_hi_u32 s26, s25, s6
	s_addc_u32 s0, s0, s27
	s_addc_u32 s1, s26, 0
	s_mul_i32 s6, s25, s6
	s_add_u32 s6, s0, s6
	s_addc_u32 s12, 0, s1
	s_mul_i32 s0, s20, s12
	s_mul_hi_u32 s1, s20, s6
	s_add_i32 s0, s1, s0
	s_mul_i32 s1, s21, s6
	s_add_i32 s26, s0, s1
	s_mul_i32 s1, s20, s6
	v_mov_b32_e32 v1, s1
	s_sub_i32 s0, s25, s26
	v_sub_co_u32_e32 v1, vcc, s24, v1
	s_cmp_lg_u64 vcc, 0
	s_subb_u32 s24, s0, s21
	v_subrev_co_u32_e64 v2, s[0:1], s20, v1
	s_cmp_lg_u64 s[0:1], 0
	s_subb_u32 s0, s24, 0
	s_cmp_ge_u32 s0, s21
	v_readfirstlane_b32 s24, v2
	s_cselect_b32 s1, -1, 0
	s_cmp_ge_u32 s24, s20
	s_cselect_b32 s24, -1, 0
	s_cmp_eq_u32 s0, s21
	s_cselect_b32 s0, s24, s1
	s_add_u32 s1, s6, 1
	s_addc_u32 s24, s12, 0
	s_add_u32 s27, s6, 2
	s_addc_u32 s28, s12, 0
	s_cmp_lg_u32 s0, 0
	s_cselect_b32 s0, s27, s1
	s_cselect_b32 s1, s28, s24
	s_cmp_lg_u64 vcc, 0
	s_subb_u32 s24, s25, s26
	s_cmp_ge_u32 s24, s21
	v_readfirstlane_b32 s26, v1
	s_cselect_b32 s25, -1, 0
	s_cmp_ge_u32 s26, s20
	s_cselect_b32 s20, -1, 0
	s_cmp_eq_u32 s24, s21
	s_cselect_b32 s20, s20, s25
	s_cmp_lg_u32 s20, 0
	s_cselect_b32 s1, s1, s12
	s_cselect_b32 s0, s0, s6
	s_xor_b64 s[8:9], s[22:23], s[8:9]
	s_xor_b64 s[0:1], s[0:1], s[8:9]
	s_sub_u32 s8, s0, s8
	s_subb_u32 s9, s1, s9
	v_cvt_f32_u32_e32 v1, s10
	s_cbranch_execnz .LBB10_3
.LBB10_2:
	v_rcp_iflag_f32_e32 v2, v1
	s_sub_i32 s0, 0, s10
	s_mov_b32 s9, 0
	v_mul_f32_e32 v2, 0x4f7ffffe, v2
	v_cvt_u32_f32_e32 v2, v2
	v_readfirstlane_b32 s1, v2
	s_mul_i32 s0, s0, s1
	s_mul_hi_u32 s0, s1, s0
	s_add_i32 s1, s1, s0
	s_mul_hi_u32 s0, s2, s1
	s_mul_i32 s6, s0, s10
	s_sub_i32 s6, s2, s6
	s_add_i32 s1, s0, 1
	s_sub_i32 s8, s6, s10
	s_cmp_ge_u32 s6, s10
	s_cselect_b32 s0, s1, s0
	s_cselect_b32 s6, s8, s6
	s_add_i32 s1, s0, 1
	s_cmp_ge_u32 s6, s10
	s_cselect_b32 s8, s1, s0
.LBB10_3:
	s_mul_i32 s0, s8, s11
	s_mul_hi_u32 s1, s8, s10
	s_add_i32 s0, s1, s0
	s_mul_i32 s1, s9, s10
	s_add_i32 s0, s0, s1
	s_mul_i32 s1, s8, s10
	s_sub_u32 s1, s2, s1
	s_subb_u32 s0, s3, s0
	s_ashr_i32 s19, s15, 31
	s_mul_i32 s6, s1, s19
	s_mul_hi_u32 s9, s1, s15
	s_add_i32 s6, s9, s6
	s_mul_i32 s0, s0, s15
	s_add_i32 s23, s6, s0
	s_mul_i32 s22, s1, s15
	s_or_b64 s[0:1], s[22:23], s[10:11]
	s_mov_b32 s0, 0
	s_cmp_lg_u64 s[0:1], 0
	s_mov_b32 s18, s15
	s_cbranch_scc0 .LBB10_86
; %bb.4:
	s_add_u32 s0, s10, s11
	s_mov_b32 s20, s11
	s_mov_b32 s21, s11
	s_addc_u32 s1, s11, s11
	s_xor_b64 s[26:27], s[0:1], s[20:21]
	v_cvt_f32_u32_e32 v2, s26
	v_cvt_f32_u32_e32 v3, s27
	s_sub_u32 s0, 0, s26
	s_subb_u32 s1, 0, s27
	v_madmk_f32 v2, v3, 0x4f800000, v2
	v_rcp_f32_e32 v2, v2
	v_mul_f32_e32 v2, 0x5f7ffffc, v2
	v_mul_f32_e32 v3, 0x2f800000, v2
	v_trunc_f32_e32 v3, v3
	v_madmk_f32 v2, v3, 0xcf800000, v2
	v_cvt_u32_f32_e32 v3, v3
	v_cvt_u32_f32_e32 v2, v2
	v_readfirstlane_b32 s6, v3
	v_readfirstlane_b32 s9, v2
	s_mul_i32 s12, s0, s6
	s_mul_hi_u32 s29, s0, s9
	s_mul_i32 s28, s1, s9
	s_add_i32 s12, s29, s12
	s_add_i32 s12, s12, s28
	s_mul_i32 s30, s0, s9
	s_mul_hi_u32 s28, s9, s12
	s_mul_i32 s29, s9, s12
	s_mul_hi_u32 s9, s9, s30
	s_add_u32 s9, s9, s29
	s_addc_u32 s28, 0, s28
	s_mul_hi_u32 s31, s6, s30
	s_mul_i32 s30, s6, s30
	s_add_u32 s9, s9, s30
	s_mul_hi_u32 s29, s6, s12
	s_addc_u32 s9, s28, s31
	s_addc_u32 s28, s29, 0
	s_mul_i32 s12, s6, s12
	s_add_u32 s9, s9, s12
	s_addc_u32 s12, 0, s28
	v_add_co_u32_e32 v2, vcc, s9, v2
	s_cmp_lg_u64 vcc, 0
	s_addc_u32 s6, s6, s12
	v_readfirstlane_b32 s12, v2
	s_mul_i32 s9, s0, s6
	s_mul_hi_u32 s28, s0, s12
	s_add_i32 s9, s28, s9
	s_mul_i32 s1, s1, s12
	s_add_i32 s9, s9, s1
	s_mul_i32 s0, s0, s12
	s_mul_hi_u32 s28, s6, s0
	s_mul_i32 s29, s6, s0
	s_mul_i32 s31, s12, s9
	s_mul_hi_u32 s0, s12, s0
	s_mul_hi_u32 s30, s12, s9
	s_add_u32 s0, s0, s31
	s_addc_u32 s12, 0, s30
	s_add_u32 s0, s0, s29
	s_mul_hi_u32 s1, s6, s9
	s_addc_u32 s0, s12, s28
	s_addc_u32 s1, s1, 0
	s_mul_i32 s9, s6, s9
	s_add_u32 s0, s0, s9
	s_addc_u32 s1, 0, s1
	v_add_co_u32_e32 v2, vcc, s0, v2
	s_cmp_lg_u64 vcc, 0
	s_addc_u32 s6, s6, s1
	s_ashr_i32 s28, s23, 31
	s_add_u32 s0, s22, s28
	s_mov_b32 s29, s28
	s_addc_u32 s1, s23, s28
	s_xor_b64 s[30:31], s[0:1], s[28:29]
	v_readfirstlane_b32 s9, v2
	s_mul_i32 s1, s30, s6
	s_mul_hi_u32 s12, s30, s9
	s_mul_hi_u32 s0, s30, s6
	s_add_u32 s1, s12, s1
	s_addc_u32 s0, 0, s0
	s_mul_hi_u32 s33, s31, s9
	s_mul_i32 s9, s31, s9
	s_add_u32 s1, s1, s9
	s_mul_hi_u32 s12, s31, s6
	s_addc_u32 s0, s0, s33
	s_addc_u32 s1, s12, 0
	s_mul_i32 s6, s31, s6
	s_add_u32 s6, s0, s6
	s_addc_u32 s9, 0, s1
	s_mul_i32 s0, s26, s9
	s_mul_hi_u32 s1, s26, s6
	s_add_i32 s0, s1, s0
	s_mul_i32 s1, s27, s6
	s_add_i32 s12, s0, s1
	s_mul_i32 s1, s26, s6
	v_mov_b32_e32 v2, s1
	s_sub_i32 s0, s31, s12
	v_sub_co_u32_e32 v2, vcc, s30, v2
	s_cmp_lg_u64 vcc, 0
	s_subb_u32 s30, s0, s27
	v_subrev_co_u32_e64 v3, s[0:1], s26, v2
	s_cmp_lg_u64 s[0:1], 0
	s_subb_u32 s0, s30, 0
	s_cmp_ge_u32 s0, s27
	v_readfirstlane_b32 s30, v3
	s_cselect_b32 s1, -1, 0
	s_cmp_ge_u32 s30, s26
	s_cselect_b32 s30, -1, 0
	s_cmp_eq_u32 s0, s27
	s_cselect_b32 s0, s30, s1
	s_add_u32 s1, s6, 1
	s_addc_u32 s30, s9, 0
	s_add_u32 s33, s6, 2
	s_addc_u32 s34, s9, 0
	s_cmp_lg_u32 s0, 0
	s_cselect_b32 s0, s33, s1
	s_cselect_b32 s1, s34, s30
	s_cmp_lg_u64 vcc, 0
	s_subb_u32 s12, s31, s12
	s_cmp_ge_u32 s12, s27
	v_readfirstlane_b32 s31, v2
	s_cselect_b32 s30, -1, 0
	s_cmp_ge_u32 s31, s26
	s_cselect_b32 s26, -1, 0
	s_cmp_eq_u32 s12, s27
	s_cselect_b32 s12, s26, s30
	s_cmp_lg_u32 s12, 0
	s_cselect_b32 s1, s1, s9
	s_cselect_b32 s0, s0, s6
	s_xor_b64 s[20:21], s[28:29], s[20:21]
	s_xor_b64 s[0:1], s[0:1], s[20:21]
	s_sub_u32 s20, s0, s20
	s_cbranch_execnz .LBB10_6
.LBB10_5:
	v_rcp_iflag_f32_e32 v2, v1
	s_sub_i32 s0, 0, s10
	v_mul_f32_e32 v2, 0x4f7ffffe, v2
	v_cvt_u32_f32_e32 v2, v2
	v_readfirstlane_b32 s1, v2
	s_mul_i32 s0, s0, s1
	s_mul_hi_u32 s0, s1, s0
	s_add_i32 s1, s1, s0
	s_mul_hi_u32 s0, s22, s1
	s_mul_i32 s6, s0, s10
	s_sub_i32 s6, s22, s6
	s_add_i32 s1, s0, 1
	s_sub_i32 s9, s6, s10
	s_cmp_ge_u32 s6, s10
	s_cselect_b32 s0, s1, s0
	s_cselect_b32 s6, s9, s6
	s_add_i32 s1, s0, 1
	s_cmp_ge_u32 s6, s10
	s_cselect_b32 s20, s1, s0
.LBB10_6:
	s_add_u32 s0, s22, s18
	s_addc_u32 s1, s23, s19
	s_add_u32 s22, s0, -1
	s_addc_u32 s23, s1, -1
	s_or_b64 s[0:1], s[22:23], s[10:11]
	s_mov_b32 s0, 0
	s_cmp_lg_u64 s[0:1], 0
	s_mov_b64 s[24:25], -1
	s_cbranch_scc0 .LBB10_87
; %bb.7:
	s_add_u32 s0, s10, s11
	s_mov_b32 s26, s11
	s_mov_b32 s27, s11
	s_addc_u32 s1, s11, s11
	s_xor_b64 s[28:29], s[0:1], s[26:27]
	v_cvt_f32_u32_e32 v2, s28
	v_cvt_f32_u32_e32 v3, s29
	s_sub_u32 s0, 0, s28
	s_subb_u32 s1, 0, s29
	v_madmk_f32 v2, v3, 0x4f800000, v2
	v_rcp_f32_e32 v2, v2
	v_mul_f32_e32 v2, 0x5f7ffffc, v2
	v_mul_f32_e32 v3, 0x2f800000, v2
	v_trunc_f32_e32 v3, v3
	v_madmk_f32 v2, v3, 0xcf800000, v2
	v_cvt_u32_f32_e32 v3, v3
	v_cvt_u32_f32_e32 v2, v2
	v_readfirstlane_b32 s6, v3
	v_readfirstlane_b32 s9, v2
	s_mul_i32 s12, s0, s6
	s_mul_hi_u32 s30, s0, s9
	s_mul_i32 s21, s1, s9
	s_add_i32 s12, s30, s12
	s_add_i32 s12, s12, s21
	s_mul_i32 s31, s0, s9
	s_mul_hi_u32 s21, s9, s12
	s_mul_i32 s30, s9, s12
	s_mul_hi_u32 s9, s9, s31
	s_add_u32 s9, s9, s30
	s_addc_u32 s21, 0, s21
	s_mul_hi_u32 s33, s6, s31
	s_mul_i32 s31, s6, s31
	s_add_u32 s9, s9, s31
	s_mul_hi_u32 s30, s6, s12
	s_addc_u32 s9, s21, s33
	s_addc_u32 s21, s30, 0
	s_mul_i32 s12, s6, s12
	s_add_u32 s9, s9, s12
	s_addc_u32 s12, 0, s21
	v_add_co_u32_e32 v2, vcc, s9, v2
	s_cmp_lg_u64 vcc, 0
	s_addc_u32 s6, s6, s12
	v_readfirstlane_b32 s12, v2
	s_mul_i32 s9, s0, s6
	s_mul_hi_u32 s21, s0, s12
	s_add_i32 s9, s21, s9
	s_mul_i32 s1, s1, s12
	s_add_i32 s9, s9, s1
	s_mul_i32 s0, s0, s12
	s_mul_hi_u32 s21, s6, s0
	s_mul_i32 s30, s6, s0
	s_mul_i32 s33, s12, s9
	s_mul_hi_u32 s0, s12, s0
	s_mul_hi_u32 s31, s12, s9
	s_add_u32 s0, s0, s33
	s_addc_u32 s12, 0, s31
	s_add_u32 s0, s0, s30
	s_mul_hi_u32 s1, s6, s9
	s_addc_u32 s0, s12, s21
	s_addc_u32 s1, s1, 0
	s_mul_i32 s9, s6, s9
	s_add_u32 s0, s0, s9
	s_addc_u32 s1, 0, s1
	v_add_co_u32_e32 v2, vcc, s0, v2
	s_cmp_lg_u64 vcc, 0
	s_addc_u32 s6, s6, s1
	s_ashr_i32 s30, s23, 31
	s_add_u32 s0, s22, s30
	s_mov_b32 s31, s30
	s_addc_u32 s1, s23, s30
	s_xor_b64 s[34:35], s[0:1], s[30:31]
	v_readfirstlane_b32 s9, v2
	s_mul_i32 s1, s34, s6
	s_mul_hi_u32 s12, s34, s9
	s_mul_hi_u32 s0, s34, s6
	s_add_u32 s1, s12, s1
	s_addc_u32 s0, 0, s0
	s_mul_hi_u32 s21, s35, s9
	s_mul_i32 s9, s35, s9
	s_add_u32 s1, s1, s9
	s_mul_hi_u32 s12, s35, s6
	s_addc_u32 s0, s0, s21
	s_addc_u32 s1, s12, 0
	s_mul_i32 s6, s35, s6
	s_add_u32 s6, s0, s6
	s_addc_u32 s0, 0, s1
	s_mul_i32 s0, s28, s0
	s_mul_hi_u32 s1, s28, s6
	s_add_i32 s0, s1, s0
	s_mul_i32 s1, s29, s6
	s_add_i32 s9, s0, s1
	s_mul_i32 s1, s28, s6
	v_mov_b32_e32 v2, s1
	s_sub_i32 s0, s35, s9
	v_sub_co_u32_e32 v2, vcc, s34, v2
	s_cmp_lg_u64 vcc, 0
	s_subb_u32 s12, s0, s29
	v_subrev_co_u32_e64 v3, s[0:1], s28, v2
	s_cmp_lg_u64 s[0:1], 0
	s_subb_u32 s12, s12, 0
	s_cmp_ge_u32 s12, s29
	s_cselect_b32 s21, -1, 0
	v_cmp_le_u32_e64 s[0:1], s28, v3
	s_cmp_eq_u32 s12, s29
	v_cndmask_b32_e64 v3, 0, -1, s[0:1]
	v_mov_b32_e32 v4, s21
	s_cselect_b64 s[0:1], -1, 0
	v_cndmask_b32_e64 v3, v4, v3, s[0:1]
	s_add_u32 s0, s6, 1
	s_add_u32 s1, s6, 2
	v_mov_b32_e32 v4, s0
	v_mov_b32_e32 v5, s1
	v_cmp_ne_u32_e64 s[0:1], 0, v3
	s_cmp_lg_u64 vcc, 0
	v_cndmask_b32_e64 v3, v4, v5, s[0:1]
	s_subb_u32 s0, s35, s9
	s_cmp_ge_u32 s0, s29
	s_cselect_b32 s1, -1, 0
	v_cmp_le_u32_e32 vcc, s28, v2
	s_cmp_eq_u32 s0, s29
	v_cndmask_b32_e64 v2, 0, -1, vcc
	v_mov_b32_e32 v4, s1
	s_cselect_b64 vcc, -1, 0
	v_cndmask_b32_e32 v2, v4, v2, vcc
	v_mov_b32_e32 v4, s6
	v_cmp_ne_u32_e32 vcc, 0, v2
	v_cndmask_b32_e32 v2, v4, v3, vcc
	s_xor_b64 s[0:1], s[30:31], s[26:27]
	v_xor_b32_e32 v2, s0, v2
	v_subrev_co_u32_e32 v4, vcc, s0, v2
	s_load_dword s0, s[4:5], 0x3c
	s_cbranch_execnz .LBB10_9
.LBB10_8:
	v_rcp_iflag_f32_e32 v1, v1
	s_sub_i32 s1, 0, s10
	v_mul_f32_e32 v1, 0x4f7ffffe, v1
	v_cvt_u32_f32_e32 v1, v1
	v_mul_lo_u32 v2, s1, v1
	v_mul_hi_u32 v2, v1, v2
	v_add_u32_e32 v1, v1, v2
	v_mul_hi_u32 v1, s22, v1
	v_mul_lo_u32 v3, v1, s10
	v_sub_u32_e32 v3, s22, v3
	v_add_u32_e32 v2, 1, v1
	v_subrev_u32_e32 v4, s10, v3
	v_cmp_le_u32_e32 vcc, s10, v3
	v_cndmask_b32_e32 v3, v3, v4, vcc
	v_cndmask_b32_e32 v1, v1, v2, vcc
	v_add_u32_e32 v2, 1, v1
	v_cmp_le_u32_e32 vcc, s10, v3
	v_cndmask_b32_e32 v4, v1, v2, vcc
.LBB10_9:
	s_waitcnt lgkmcnt(0)
	s_lshr_b32 s1, s0, 16
	s_mul_i32 s7, s7, s1
	v_bfe_u32 v1, v0, 10, 10
	v_add_u32_e32 v2, s7, v1
	v_cmp_gt_i32_e32 vcc, s13, v2
	s_and_saveexec_b64 s[6:7], vcc
	s_cbranch_execz .LBB10_84
; %bb.10:
	s_load_dword s6, s[4:5], 0x34
	s_load_dwordx4 s[24:27], s[4:5], 0x0
	s_mul_i32 s5, s14, s13
	s_mul_hi_i32 s4, s14, s13
	s_mul_i32 s3, s5, s3
	s_mul_hi_u32 s7, s5, s2
	s_add_i32 s3, s7, s3
	s_mul_i32 s4, s4, s2
	s_add_i32 s3, s3, s4
	s_mul_i32 s2, s5, s2
	s_ashr_i32 s12, s13, 31
	s_ashr_i32 s33, s14, 31
	s_lshl_b64 s[2:3], s[2:3], 1
	s_waitcnt lgkmcnt(0)
	s_add_u32 s55, s24, s2
	s_mul_i32 s2, s8, s15
	s_addc_u32 s56, s25, s3
	s_add_i32 s2, s2, s20
	s_mul_i32 s4, s17, s16
	s_mul_i32 s2, s4, s2
	s_ashr_i32 s3, s2, 31
	s_lshl_b64 s[2:3], s[2:3], 1
	s_add_u32 s22, s26, s2
	s_addc_u32 s23, s27, s3
	s_ashr_i32 s62, s13, 31
	s_add_i32 s2, s13, s62
	s_xor_b32 s63, s2, s62
	v_and_b32_e32 v39, 0x3ff, v0
	v_cvt_f32_u32_e32 v0, s63
	s_mov_b32 s21, s13
	v_cvt_f32_u32_e32 v3, s21
	s_ashr_i32 s5, s4, 31
	v_rcp_iflag_f32_e32 v1, v0
	s_lshl_b64 s[24:25], s[4:5], 1
	v_rcp_iflag_f32_e32 v3, v3
	s_sub_i32 s4, 0, s63
	v_mul_f32_e32 v1, 0x4f7ffffe, v1
	v_cvt_u32_f32_e32 v1, v1
	v_mul_f32_e32 v3, 0x4f7ffffe, v3
	v_cvt_u32_f32_e32 v3, v3
	v_add_u32_e32 v38, 1, v4
	v_mul_lo_u32 v4, s4, v1
	v_mul_hi_u32 v4, v1, v4
	s_sub_i32 s4, 0, s13
	v_add_u32_e32 v40, v1, v4
	v_mul_lo_u32 v1, s4, v3
	v_mul_hi_u32 v1, v3, v1
	s_mov_b32 s54, s14
	s_mul_i32 s15, s6, s1
	s_and_b32 s57, s0, 0xffff
	s_ashr_i32 s58, s16, 31
	s_mov_b32 s59, s16
	v_cmp_gt_i32_e64 s[0:1], s14, v39
	s_ashr_i32 s60, s17, 31
	s_mov_b32 s61, s17
	v_cmp_lt_i32_e64 s[2:3], s20, v38
	s_mov_b64 s[26:27], 0
	v_mov_b32_e32 v0, 0
	s_mov_b32 s28, 0
	v_add_u32_e32 v41, v3, v1
	s_branch .LBB10_12
.LBB10_11:                              ;   in Loop: Header=BB10_12 Depth=1
	s_or_b64 exec, exec, s[30:31]
	v_add_u32_e32 v2, s15, v2
	v_cmp_le_i32_e32 vcc, s13, v2
	s_or_b64 s[26:27], vcc, s[26:27]
	s_andn2_b64 exec, exec, s[26:27]
	s_cbranch_execz .LBB10_84
.LBB10_12:                              ; =>This Loop Header: Depth=1
                                        ;     Child Loop BB10_27 Depth 2
                                        ;       Child Loop BB10_42 Depth 3
                                        ;         Child Loop BB10_54 Depth 4
                                        ;           Child Loop BB10_69 Depth 5
	v_ashrrev_i32_e32 v3, 31, v2
	v_or_b32_e32 v1, s12, v3
	v_cmp_ne_u64_e32 vcc, 0, v[0:1]
                                        ; implicit-def: $vgpr6_vgpr7
	s_and_saveexec_b64 s[4:5], vcc
	s_xor_b64 s[4:5], exec, s[4:5]
	s_cbranch_execz .LBB10_14
; %bb.13:                               ;   in Loop: Header=BB10_12 Depth=1
	v_ashrrev_i32_e32 v1, 31, v2
	v_add_u32_e32 v4, v2, v1
	v_xor_b32_e32 v4, v4, v1
	v_mul_hi_u32 v5, v4, v40
	v_mul_lo_u32 v6, v5, s63
	v_sub_u32_e32 v4, v4, v6
	v_subrev_u32_e32 v6, s63, v4
	v_cmp_le_u32_e32 vcc, s63, v4
	v_cndmask_b32_e32 v4, v4, v6, vcc
	v_add_u32_e32 v6, 1, v5
	v_cndmask_b32_e32 v5, v5, v6, vcc
	v_add_u32_e32 v6, 1, v5
	v_cmp_le_u32_e32 vcc, s63, v4
	v_cndmask_b32_e32 v4, v5, v6, vcc
	v_xor_b32_e32 v1, s62, v1
	v_xor_b32_e32 v4, v4, v1
	v_sub_u32_e32 v6, v4, v1
	v_ashrrev_i32_e32 v7, 31, v6
.LBB10_14:                              ;   in Loop: Header=BB10_12 Depth=1
	s_andn2_saveexec_b64 s[4:5], s[4:5]
	s_cbranch_execz .LBB10_16
; %bb.15:                               ;   in Loop: Header=BB10_12 Depth=1
	v_mul_hi_u32 v1, v2, v41
	v_mul_lo_u32 v4, v1, s21
	v_sub_u32_e32 v4, v2, v4
	v_subrev_u32_e32 v5, s21, v4
	v_cmp_le_u32_e32 vcc, s21, v4
	v_cndmask_b32_e32 v4, v4, v5, vcc
	v_add_u32_e32 v5, 1, v1
	v_cndmask_b32_e32 v1, v1, v5, vcc
	v_add_u32_e32 v5, 1, v1
	v_cmp_le_u32_e32 vcc, s21, v4
	v_cndmask_b32_e32 v6, v1, v5, vcc
	v_mov_b32_e32 v7, v0
.LBB10_16:                              ;   in Loop: Header=BB10_12 Depth=1
	s_or_b64 exec, exec, s[4:5]
	v_mul_lo_u32 v1, v7, s21
	v_mul_lo_u32 v7, v6, s12
	v_mad_u64_u32 v[4:5], s[4:5], v6, s21, 0
	v_add3_u32 v1, v5, v7, v1
	v_sub_co_u32_e32 v4, vcc, v2, v4
	v_subb_co_u32_e32 v1, vcc, v3, v1, vcc
	v_mul_lo_u32 v1, v1, s59
	v_mul_lo_u32 v7, v4, s58
	v_mad_u64_u32 v[4:5], s[4:5], v4, s59, 0
	v_add3_u32 v5, v5, v7, v1
	v_or_b32_e32 v1, s12, v5
	v_cmp_ne_u64_e32 vcc, 0, v[0:1]
                                        ; implicit-def: $vgpr8_vgpr9
	s_and_saveexec_b64 s[4:5], vcc
	s_xor_b64 s[6:7], exec, s[4:5]
	s_cbranch_execz .LBB10_18
; %bb.17:                               ;   in Loop: Header=BB10_12 Depth=1
	s_add_u32 s4, s21, s12
	s_mov_b32 s8, s12
	s_mov_b32 s9, s12
	s_addc_u32 s5, s12, s12
	s_xor_b64 s[30:31], s[4:5], s[8:9]
	v_cvt_f32_u32_e32 v1, s30
	v_cvt_f32_u32_e32 v7, s31
	s_sub_u32 s4, 0, s30
	s_subb_u32 s5, 0, s31
	v_mac_f32_e32 v1, 0x4f800000, v7
	v_rcp_f32_e32 v1, v1
	v_mul_f32_e32 v1, 0x5f7ffffc, v1
	v_mul_f32_e32 v7, 0x2f800000, v1
	v_trunc_f32_e32 v7, v7
	v_mac_f32_e32 v1, 0xcf800000, v7
	v_cvt_u32_f32_e32 v7, v7
	v_cvt_u32_f32_e32 v1, v1
	v_mul_lo_u32 v8, s4, v7
	v_mul_hi_u32 v10, s4, v1
	v_mul_lo_u32 v9, s5, v1
	v_add_u32_e32 v8, v10, v8
	v_mul_lo_u32 v11, s4, v1
	v_add_u32_e32 v8, v8, v9
	v_mul_lo_u32 v10, v1, v8
	v_mul_hi_u32 v12, v1, v11
	v_mul_hi_u32 v9, v1, v8
	v_add_co_u32_e32 v10, vcc, v12, v10
	v_addc_co_u32_e32 v9, vcc, 0, v9, vcc
	v_mul_hi_u32 v13, v7, v11
	v_mul_lo_u32 v11, v7, v11
	v_add_co_u32_e32 v10, vcc, v10, v11
	v_mul_hi_u32 v12, v7, v8
	v_addc_co_u32_e32 v9, vcc, v9, v13, vcc
	v_addc_co_u32_e32 v10, vcc, 0, v12, vcc
	v_mul_lo_u32 v8, v7, v8
	v_add_co_u32_e32 v8, vcc, v9, v8
	v_addc_co_u32_e32 v9, vcc, 0, v10, vcc
	v_add_co_u32_e32 v1, vcc, v1, v8
	v_addc_co_u32_e32 v7, vcc, v7, v9, vcc
	v_mul_lo_u32 v8, s4, v7
	v_mul_hi_u32 v9, s4, v1
	v_add_u32_e32 v8, v9, v8
	v_mul_lo_u32 v9, s5, v1
	v_add_u32_e32 v8, v8, v9
	v_mul_lo_u32 v10, s4, v1
	v_mul_hi_u32 v11, v7, v10
	v_mul_lo_u32 v12, v7, v10
	v_mul_lo_u32 v14, v1, v8
	v_mul_hi_u32 v10, v1, v10
	v_mul_hi_u32 v13, v1, v8
	v_add_co_u32_e32 v10, vcc, v10, v14
	v_addc_co_u32_e32 v13, vcc, 0, v13, vcc
	v_add_co_u32_e32 v10, vcc, v10, v12
	v_mul_hi_u32 v9, v7, v8
	v_addc_co_u32_e32 v10, vcc, v13, v11, vcc
	v_addc_co_u32_e32 v9, vcc, 0, v9, vcc
	v_mul_lo_u32 v8, v7, v8
	v_add_co_u32_e32 v8, vcc, v10, v8
	v_addc_co_u32_e32 v9, vcc, 0, v9, vcc
	v_add_co_u32_e32 v1, vcc, v1, v8
	v_addc_co_u32_e32 v7, vcc, v7, v9, vcc
	v_ashrrev_i32_e32 v10, 31, v5
	v_add_co_u32_e32 v4, vcc, v4, v10
	v_addc_co_u32_e32 v5, vcc, v5, v10, vcc
	v_xor_b32_e32 v12, v4, v10
	v_xor_b32_e32 v11, v5, v10
	v_mad_u64_u32 v[4:5], s[4:5], v12, v7, 0
	v_mul_hi_u32 v8, v12, v1
	v_add_co_u32_e32 v13, vcc, v8, v4
	v_addc_co_u32_e32 v14, vcc, 0, v5, vcc
	v_mad_u64_u32 v[8:9], s[4:5], v11, v1, 0
	v_add_co_u32_e32 v1, vcc, v13, v8
	v_mad_u64_u32 v[4:5], s[4:5], v11, v7, 0
	v_addc_co_u32_e32 v1, vcc, v14, v9, vcc
	v_addc_co_u32_e32 v5, vcc, 0, v5, vcc
	v_add_co_u32_e32 v1, vcc, v1, v4
	v_addc_co_u32_e32 v4, vcc, 0, v5, vcc
	v_mul_lo_u32 v7, s31, v1
	v_mul_lo_u32 v8, s30, v4
	v_mad_u64_u32 v[4:5], s[4:5], s30, v1, 0
	v_add3_u32 v5, v5, v8, v7
	v_sub_u32_e32 v7, v11, v5
	v_mov_b32_e32 v8, s31
	v_sub_co_u32_e32 v4, vcc, v12, v4
	v_subb_co_u32_e64 v7, s[4:5], v7, v8, vcc
	v_subrev_co_u32_e64 v8, s[4:5], s30, v4
	v_subbrev_co_u32_e64 v7, s[4:5], 0, v7, s[4:5]
	v_cmp_le_u32_e64 s[4:5], s31, v7
	v_subb_co_u32_e32 v5, vcc, v11, v5, vcc
	v_cndmask_b32_e64 v9, 0, -1, s[4:5]
	v_cmp_le_u32_e64 s[4:5], s30, v8
	v_cmp_le_u32_e32 vcc, s31, v5
	v_cndmask_b32_e64 v8, 0, -1, s[4:5]
	v_cmp_eq_u32_e64 s[4:5], s31, v7
	v_cndmask_b32_e64 v11, 0, -1, vcc
	v_cmp_le_u32_e32 vcc, s30, v4
	v_cndmask_b32_e64 v7, v9, v8, s[4:5]
	v_cndmask_b32_e64 v4, 0, -1, vcc
	v_cmp_eq_u32_e32 vcc, s31, v5
	v_add_co_u32_e64 v8, s[4:5], 2, v1
	v_add_co_u32_e64 v9, s[4:5], 1, v1
	v_cndmask_b32_e32 v4, v11, v4, vcc
	v_cmp_ne_u32_e32 vcc, 0, v7
	v_cndmask_b32_e32 v5, v9, v8, vcc
	v_cmp_ne_u32_e32 vcc, 0, v4
	v_cndmask_b32_e32 v1, v1, v5, vcc
	v_xor_b32_e32 v4, s8, v10
	v_xor_b32_e32 v1, v1, v4
	v_sub_co_u32_e32 v8, vcc, v1, v4
                                        ; implicit-def: $vgpr4_vgpr5
.LBB10_18:                              ;   in Loop: Header=BB10_12 Depth=1
	s_andn2_saveexec_b64 s[4:5], s[6:7]
; %bb.19:                               ;   in Loop: Header=BB10_12 Depth=1
	v_mul_hi_u32 v1, v4, v41
	v_mul_lo_u32 v5, v1, s21
	v_sub_u32_e32 v4, v4, v5
	v_subrev_u32_e32 v5, s21, v4
	v_cmp_le_u32_e32 vcc, s21, v4
	v_cndmask_b32_e32 v4, v4, v5, vcc
	v_add_u32_e32 v5, 1, v1
	v_cndmask_b32_e32 v1, v1, v5, vcc
	v_add_u32_e32 v5, 1, v1
	v_cmp_le_u32_e32 vcc, s21, v4
	v_cndmask_b32_e32 v8, v1, v5, vcc
; %bb.20:                               ;   in Loop: Header=BB10_12 Depth=1
	s_or_b64 exec, exec, s[4:5]
	v_add_co_u32_e32 v1, vcc, 1, v2
	v_addc_co_u32_e32 v3, vcc, 0, v3, vcc
	v_mul_lo_u32 v7, v1, s58
	v_mul_lo_u32 v3, v3, s59
	v_mad_u64_u32 v[4:5], s[4:5], v1, s59, -1
	v_add3_u32 v5, v3, v5, v7
	v_or_b32_e32 v1, s12, v5
	v_cmp_ne_u64_e32 vcc, 0, v[0:1]
                                        ; implicit-def: $vgpr10_vgpr11
	s_and_saveexec_b64 s[4:5], vcc
	s_xor_b64 s[6:7], exec, s[4:5]
	s_cbranch_execnz .LBB10_23
; %bb.21:                               ;   in Loop: Header=BB10_12 Depth=1
	s_andn2_saveexec_b64 s[4:5], s[6:7]
	s_cbranch_execnz .LBB10_24
.LBB10_22:                              ;   in Loop: Header=BB10_12 Depth=1
	s_or_b64 exec, exec, s[4:5]
	s_and_saveexec_b64 s[30:31], s[0:1]
	s_cbranch_execz .LBB10_11
	s_branch .LBB10_25
.LBB10_23:                              ;   in Loop: Header=BB10_12 Depth=1
	s_add_u32 s4, s21, s12
	s_mov_b32 s8, s12
	s_mov_b32 s9, s12
	s_addc_u32 s5, s12, s12
	s_xor_b64 s[30:31], s[4:5], s[8:9]
	v_cvt_f32_u32_e32 v1, s30
	v_cvt_f32_u32_e32 v3, s31
	s_sub_u32 s4, 0, s30
	s_subb_u32 s5, 0, s31
	v_mac_f32_e32 v1, 0x4f800000, v3
	v_rcp_f32_e32 v1, v1
	v_mul_f32_e32 v1, 0x5f7ffffc, v1
	v_mul_f32_e32 v3, 0x2f800000, v1
	v_trunc_f32_e32 v3, v3
	v_mac_f32_e32 v1, 0xcf800000, v3
	v_cvt_u32_f32_e32 v3, v3
	v_cvt_u32_f32_e32 v1, v1
	v_mul_lo_u32 v7, s4, v3
	v_mul_hi_u32 v10, s4, v1
	v_mul_lo_u32 v9, s5, v1
	v_add_u32_e32 v7, v10, v7
	v_mul_lo_u32 v11, s4, v1
	v_add_u32_e32 v7, v7, v9
	v_mul_lo_u32 v10, v1, v7
	v_mul_hi_u32 v12, v1, v11
	v_mul_hi_u32 v9, v1, v7
	v_add_co_u32_e32 v10, vcc, v12, v10
	v_addc_co_u32_e32 v9, vcc, 0, v9, vcc
	v_mul_hi_u32 v13, v3, v11
	v_mul_lo_u32 v11, v3, v11
	v_add_co_u32_e32 v10, vcc, v10, v11
	v_mul_hi_u32 v12, v3, v7
	v_addc_co_u32_e32 v9, vcc, v9, v13, vcc
	v_addc_co_u32_e32 v10, vcc, 0, v12, vcc
	v_mul_lo_u32 v7, v3, v7
	v_add_co_u32_e32 v7, vcc, v9, v7
	v_addc_co_u32_e32 v9, vcc, 0, v10, vcc
	v_add_co_u32_e32 v1, vcc, v1, v7
	v_addc_co_u32_e32 v3, vcc, v3, v9, vcc
	v_mul_lo_u32 v7, s4, v3
	v_mul_hi_u32 v9, s4, v1
	v_add_u32_e32 v7, v9, v7
	v_mul_lo_u32 v9, s5, v1
	v_add_u32_e32 v7, v7, v9
	v_mul_lo_u32 v10, s4, v1
	v_mul_hi_u32 v11, v3, v10
	v_mul_lo_u32 v12, v3, v10
	v_mul_lo_u32 v14, v1, v7
	v_mul_hi_u32 v10, v1, v10
	v_mul_hi_u32 v13, v1, v7
	v_add_co_u32_e32 v10, vcc, v10, v14
	v_addc_co_u32_e32 v13, vcc, 0, v13, vcc
	v_add_co_u32_e32 v10, vcc, v10, v12
	v_mul_hi_u32 v9, v3, v7
	v_addc_co_u32_e32 v10, vcc, v13, v11, vcc
	v_addc_co_u32_e32 v9, vcc, 0, v9, vcc
	v_mul_lo_u32 v7, v3, v7
	v_add_co_u32_e32 v7, vcc, v10, v7
	v_addc_co_u32_e32 v9, vcc, 0, v9, vcc
	v_add_co_u32_e32 v1, vcc, v1, v7
	v_addc_co_u32_e32 v3, vcc, v3, v9, vcc
	v_ashrrev_i32_e32 v7, 31, v5
	v_add_co_u32_e32 v4, vcc, v4, v7
	v_addc_co_u32_e32 v5, vcc, v5, v7, vcc
	v_xor_b32_e32 v12, v4, v7
	v_xor_b32_e32 v9, v5, v7
	v_mad_u64_u32 v[4:5], s[4:5], v12, v3, 0
	v_mul_hi_u32 v10, v12, v1
	v_add_co_u32_e32 v13, vcc, v10, v4
	v_addc_co_u32_e32 v14, vcc, 0, v5, vcc
	v_mad_u64_u32 v[10:11], s[4:5], v9, v1, 0
	v_add_co_u32_e32 v1, vcc, v13, v10
	v_mad_u64_u32 v[4:5], s[4:5], v9, v3, 0
	v_addc_co_u32_e32 v1, vcc, v14, v11, vcc
	v_addc_co_u32_e32 v3, vcc, 0, v5, vcc
	v_add_co_u32_e32 v1, vcc, v1, v4
	v_addc_co_u32_e32 v3, vcc, 0, v3, vcc
	v_mul_lo_u32 v10, s31, v1
	v_mul_lo_u32 v3, s30, v3
	v_mad_u64_u32 v[4:5], s[4:5], s30, v1, 0
	v_add3_u32 v3, v5, v3, v10
	v_sub_u32_e32 v5, v9, v3
	v_mov_b32_e32 v10, s31
	v_sub_co_u32_e32 v4, vcc, v12, v4
	v_subb_co_u32_e64 v5, s[4:5], v5, v10, vcc
	v_subrev_co_u32_e64 v10, s[4:5], s30, v4
	v_subbrev_co_u32_e64 v5, s[4:5], 0, v5, s[4:5]
	v_cmp_le_u32_e64 s[4:5], s31, v5
	v_subb_co_u32_e32 v3, vcc, v9, v3, vcc
	v_cndmask_b32_e64 v11, 0, -1, s[4:5]
	v_cmp_le_u32_e64 s[4:5], s30, v10
	v_cmp_le_u32_e32 vcc, s31, v3
	v_cndmask_b32_e64 v10, 0, -1, s[4:5]
	v_cmp_eq_u32_e64 s[4:5], s31, v5
	v_cndmask_b32_e64 v9, 0, -1, vcc
	v_cmp_le_u32_e32 vcc, s30, v4
	v_cndmask_b32_e64 v5, v11, v10, s[4:5]
	v_cndmask_b32_e64 v4, 0, -1, vcc
	v_cmp_eq_u32_e32 vcc, s31, v3
	v_add_co_u32_e64 v10, s[4:5], 2, v1
	v_add_co_u32_e64 v11, s[4:5], 1, v1
	v_cndmask_b32_e32 v3, v9, v4, vcc
	v_cmp_ne_u32_e32 vcc, 0, v5
	v_cndmask_b32_e32 v4, v11, v10, vcc
	v_cmp_ne_u32_e32 vcc, 0, v3
	v_cndmask_b32_e32 v1, v1, v4, vcc
	v_xor_b32_e32 v3, s8, v7
	v_xor_b32_e32 v1, v1, v3
	v_sub_co_u32_e32 v10, vcc, v1, v3
                                        ; implicit-def: $vgpr4_vgpr5
	s_andn2_saveexec_b64 s[4:5], s[6:7]
	s_cbranch_execz .LBB10_22
.LBB10_24:                              ;   in Loop: Header=BB10_12 Depth=1
	v_mul_hi_u32 v1, v4, v41
	v_mul_lo_u32 v3, v1, s21
	v_sub_u32_e32 v3, v4, v3
	v_subrev_u32_e32 v4, s21, v3
	v_cmp_le_u32_e32 vcc, s21, v3
	v_cndmask_b32_e32 v3, v3, v4, vcc
	v_add_u32_e32 v4, 1, v1
	v_cndmask_b32_e32 v1, v1, v4, vcc
	v_add_u32_e32 v4, 1, v1
	v_cmp_le_u32_e32 vcc, s21, v3
	v_cndmask_b32_e32 v10, v1, v4, vcc
	s_or_b64 exec, exec, s[4:5]
	s_and_saveexec_b64 s[30:31], s[0:1]
	s_cbranch_execz .LBB10_11
.LBB10_25:                              ;   in Loop: Header=BB10_12 Depth=1
	v_add_u32_e32 v42, 1, v10
	v_mul_lo_u32 v10, v2, s14
	v_ashrrev_i32_e32 v11, 31, v10
	v_mad_u64_u32 v[4:5], s[4:5], v6, s59, v[8:9]
	v_lshlrev_b64 v[10:11], 1, v[10:11]
	v_mov_b32_e32 v1, s56
	v_add_co_u32_e32 v5, vcc, s55, v10
	v_addc_co_u32_e32 v43, vcc, v1, v11, vcc
	v_cmp_gt_i32_e64 s[4:5], v42, v4
	v_mad_u64_u32 v[6:7], s[6:7], s16, v6, v[8:9]
	s_mov_b64 s[34:35], 0
	v_mov_b32_e32 v8, v39
	s_branch .LBB10_27
.LBB10_26:                              ;   in Loop: Header=BB10_27 Depth=2
	v_add_u32_e32 v8, s57, v8
	v_cmp_le_i32_e32 vcc, s14, v8
	s_or_b64 s[34:35], vcc, s[34:35]
	s_andn2_b64 exec, exec, s[34:35]
	s_cbranch_execz .LBB10_11
.LBB10_27:                              ;   Parent Loop BB10_12 Depth=1
                                        ; =>  This Loop Header: Depth=2
                                        ;       Child Loop BB10_42 Depth 3
                                        ;         Child Loop BB10_54 Depth 4
                                        ;           Child Loop BB10_69 Depth 5
	v_or_b32_e64 v1, 0, s33
	v_mov_b32_e32 v9, v0
	v_cmp_ne_u64_e32 vcc, 0, v[0:1]
                                        ; implicit-def: $vgpr14_vgpr15
	s_and_saveexec_b64 s[6:7], vcc
	s_xor_b64 s[8:9], exec, s[6:7]
	s_cbranch_execz .LBB10_29
; %bb.28:                               ;   in Loop: Header=BB10_27 Depth=2
	s_add_u32 s6, s54, s33
	s_mov_b32 s36, s33
	s_mov_b32 s37, s33
	s_addc_u32 s7, s33, s33
	s_xor_b64 s[38:39], s[6:7], s[36:37]
	v_cvt_f32_u32_e32 v1, s38
	v_cvt_f32_u32_e32 v3, s39
	s_sub_u32 s6, 0, s38
	s_subb_u32 s7, 0, s39
	v_mac_f32_e32 v1, 0x4f800000, v3
	v_rcp_f32_e32 v1, v1
	v_mul_f32_e32 v1, 0x5f7ffffc, v1
	v_mul_f32_e32 v3, 0x2f800000, v1
	v_trunc_f32_e32 v3, v3
	v_mac_f32_e32 v1, 0xcf800000, v3
	v_cvt_u32_f32_e32 v3, v3
	v_cvt_u32_f32_e32 v1, v1
	v_mul_lo_u32 v7, s6, v3
	v_mul_hi_u32 v11, s6, v1
	v_mul_lo_u32 v10, s7, v1
	v_add_u32_e32 v7, v11, v7
	v_mul_lo_u32 v12, s6, v1
	v_add_u32_e32 v7, v7, v10
	v_mul_lo_u32 v11, v1, v7
	v_mul_hi_u32 v13, v1, v12
	v_mul_hi_u32 v10, v1, v7
	v_add_co_u32_e32 v11, vcc, v13, v11
	v_addc_co_u32_e32 v10, vcc, 0, v10, vcc
	v_mul_hi_u32 v14, v3, v12
	v_mul_lo_u32 v12, v3, v12
	v_add_co_u32_e32 v11, vcc, v11, v12
	v_mul_hi_u32 v13, v3, v7
	v_addc_co_u32_e32 v10, vcc, v10, v14, vcc
	v_addc_co_u32_e32 v11, vcc, 0, v13, vcc
	v_mul_lo_u32 v7, v3, v7
	v_add_co_u32_e32 v7, vcc, v10, v7
	v_addc_co_u32_e32 v10, vcc, 0, v11, vcc
	v_add_co_u32_e32 v1, vcc, v1, v7
	v_addc_co_u32_e32 v3, vcc, v3, v10, vcc
	v_mul_lo_u32 v7, s6, v3
	v_mul_hi_u32 v10, s6, v1
	v_add_u32_e32 v7, v10, v7
	v_mul_lo_u32 v10, s7, v1
	v_add_u32_e32 v7, v7, v10
	v_mul_lo_u32 v11, s6, v1
	v_mul_hi_u32 v12, v3, v11
	v_mul_lo_u32 v13, v3, v11
	v_mul_lo_u32 v15, v1, v7
	v_mul_hi_u32 v11, v1, v11
	v_mul_hi_u32 v14, v1, v7
	v_add_co_u32_e32 v11, vcc, v11, v15
	v_addc_co_u32_e32 v14, vcc, 0, v14, vcc
	v_add_co_u32_e32 v11, vcc, v11, v13
	v_mul_hi_u32 v10, v3, v7
	v_addc_co_u32_e32 v11, vcc, v14, v12, vcc
	v_addc_co_u32_e32 v10, vcc, 0, v10, vcc
	v_mul_lo_u32 v7, v3, v7
	v_add_co_u32_e32 v7, vcc, v11, v7
	v_addc_co_u32_e32 v10, vcc, 0, v10, vcc
	v_add_co_u32_e32 v1, vcc, v1, v7
	v_addc_co_u32_e32 v3, vcc, v3, v10, vcc
	v_ashrrev_i32_e64 v7, 31, 0
	v_add_co_u32_e32 v10, vcc, v8, v7
	v_addc_co_u32_e32 v11, vcc, 0, v7, vcc
	v_xor_b32_e32 v15, v10, v7
	v_xor_b32_e32 v14, v11, v7
	v_mad_u64_u32 v[10:11], s[6:7], v15, v3, 0
	v_mul_hi_u32 v12, v15, v1
	v_add_co_u32_e32 v16, vcc, v12, v10
	v_addc_co_u32_e32 v17, vcc, 0, v11, vcc
	v_mad_u64_u32 v[12:13], s[6:7], v14, v1, 0
	v_add_co_u32_e32 v1, vcc, v16, v12
	v_mad_u64_u32 v[10:11], s[6:7], v14, v3, 0
	v_addc_co_u32_e32 v1, vcc, v17, v13, vcc
	v_addc_co_u32_e32 v3, vcc, 0, v11, vcc
	v_add_co_u32_e32 v1, vcc, v1, v10
	v_addc_co_u32_e32 v3, vcc, 0, v3, vcc
	v_mul_lo_u32 v12, s39, v1
	v_mul_lo_u32 v13, s38, v3
	v_mad_u64_u32 v[10:11], s[6:7], s38, v1, 0
	v_add3_u32 v11, v11, v13, v12
	v_sub_u32_e32 v12, v14, v11
	v_mov_b32_e32 v13, s39
	v_sub_co_u32_e32 v10, vcc, v15, v10
	v_subb_co_u32_e64 v12, s[6:7], v12, v13, vcc
	v_subrev_co_u32_e64 v13, s[6:7], s38, v10
	v_subbrev_co_u32_e64 v12, s[6:7], 0, v12, s[6:7]
	v_cmp_le_u32_e64 s[6:7], s39, v12
	v_cndmask_b32_e64 v15, 0, -1, s[6:7]
	v_cmp_le_u32_e64 s[6:7], s38, v13
	v_cndmask_b32_e64 v13, 0, -1, s[6:7]
	v_cmp_eq_u32_e64 s[6:7], s39, v12
	v_cndmask_b32_e64 v12, v15, v13, s[6:7]
	v_add_co_u32_e64 v13, s[6:7], 2, v1
	v_subb_co_u32_e32 v11, vcc, v14, v11, vcc
	v_addc_co_u32_e64 v15, s[6:7], 0, v3, s[6:7]
	v_cmp_le_u32_e32 vcc, s39, v11
	v_add_co_u32_e64 v16, s[6:7], 1, v1
	v_cndmask_b32_e64 v14, 0, -1, vcc
	v_cmp_le_u32_e32 vcc, s38, v10
	v_addc_co_u32_e64 v17, s[6:7], 0, v3, s[6:7]
	v_cndmask_b32_e64 v10, 0, -1, vcc
	v_cmp_eq_u32_e32 vcc, s39, v11
	v_cmp_ne_u32_e64 s[6:7], 0, v12
	v_cndmask_b32_e32 v10, v14, v10, vcc
	v_cmp_ne_u32_e32 vcc, 0, v10
	v_cndmask_b32_e64 v10, v16, v13, s[6:7]
	v_cndmask_b32_e64 v12, v17, v15, s[6:7]
	v_cndmask_b32_e32 v1, v1, v10, vcc
	v_xor_b32_e32 v10, s37, v7
	v_xor_b32_e32 v7, s36, v7
	v_cndmask_b32_e32 v3, v3, v12, vcc
	v_xor_b32_e32 v1, v1, v7
	v_xor_b32_e32 v3, v3, v10
	v_sub_co_u32_e32 v14, vcc, v1, v7
	v_subb_co_u32_e32 v15, vcc, v3, v10, vcc
.LBB10_29:                              ;   in Loop: Header=BB10_27 Depth=2
	s_or_saveexec_b64 s[6:7], s[8:9]
	v_cvt_f32_u32_e32 v3, s54
	s_xor_b64 exec, exec, s[6:7]
	s_cbranch_execz .LBB10_31
; %bb.30:                               ;   in Loop: Header=BB10_27 Depth=2
	v_rcp_iflag_f32_e32 v1, v3
	s_sub_i32 s8, 0, s54
	v_mov_b32_e32 v15, v0
	v_mul_f32_e32 v1, 0x4f7ffffe, v1
	v_cvt_u32_f32_e32 v1, v1
	v_mul_lo_u32 v7, s8, v1
	v_mul_hi_u32 v7, v1, v7
	v_add_u32_e32 v1, v1, v7
	v_mul_hi_u32 v1, v8, v1
	v_mul_lo_u32 v7, v1, s54
	v_sub_u32_e32 v7, v8, v7
	v_add_u32_e32 v10, 1, v1
	v_subrev_u32_e32 v11, s54, v7
	v_cmp_le_u32_e32 vcc, s54, v7
	v_cndmask_b32_e32 v7, v7, v11, vcc
	v_cndmask_b32_e32 v1, v1, v10, vcc
	v_add_u32_e32 v10, 1, v1
	v_cmp_le_u32_e32 vcc, s54, v7
	v_cndmask_b32_e32 v14, v1, v10, vcc
.LBB10_31:                              ;   in Loop: Header=BB10_27 Depth=2
	s_or_b64 exec, exec, s[6:7]
	v_mul_lo_u32 v1, v15, s54
	v_mul_lo_u32 v7, v14, s33
	v_mad_u64_u32 v[10:11], s[6:7], v14, s54, 0
	v_add3_u32 v1, v11, v7, v1
	v_sub_co_u32_e32 v7, vcc, v8, v10
	v_subb_co_u32_e32 v1, vcc, 0, v1, vcc
	v_mul_lo_u32 v1, v1, s61
	v_mul_lo_u32 v12, v7, s60
	v_mad_u64_u32 v[10:11], s[6:7], v7, s61, 0
	v_add3_u32 v11, v11, v12, v1
	v_or_b32_e32 v1, s33, v11
	v_cmp_ne_u64_e32 vcc, 0, v[0:1]
                                        ; implicit-def: $vgpr16_vgpr17
	s_and_saveexec_b64 s[6:7], vcc
	s_xor_b64 s[8:9], exec, s[6:7]
	s_cbranch_execz .LBB10_33
; %bb.32:                               ;   in Loop: Header=BB10_27 Depth=2
	s_add_u32 s6, s54, s33
	s_mov_b32 s36, s33
	s_mov_b32 s37, s33
	s_addc_u32 s7, s33, s33
	s_xor_b64 s[38:39], s[6:7], s[36:37]
	v_cvt_f32_u32_e32 v1, s38
	v_cvt_f32_u32_e32 v7, s39
	s_sub_u32 s6, 0, s38
	s_subb_u32 s7, 0, s39
	v_mac_f32_e32 v1, 0x4f800000, v7
	v_rcp_f32_e32 v1, v1
	v_mul_f32_e32 v1, 0x5f7ffffc, v1
	v_mul_f32_e32 v7, 0x2f800000, v1
	v_trunc_f32_e32 v7, v7
	v_mac_f32_e32 v1, 0xcf800000, v7
	v_cvt_u32_f32_e32 v7, v7
	v_cvt_u32_f32_e32 v1, v1
	v_mul_lo_u32 v12, s6, v7
	v_mul_hi_u32 v15, s6, v1
	v_mul_lo_u32 v13, s7, v1
	v_add_u32_e32 v12, v15, v12
	v_mul_lo_u32 v16, s6, v1
	v_add_u32_e32 v12, v12, v13
	v_mul_lo_u32 v15, v1, v12
	v_mul_hi_u32 v17, v1, v16
	v_mul_hi_u32 v13, v1, v12
	v_add_co_u32_e32 v15, vcc, v17, v15
	v_addc_co_u32_e32 v13, vcc, 0, v13, vcc
	v_mul_hi_u32 v18, v7, v16
	v_mul_lo_u32 v16, v7, v16
	v_add_co_u32_e32 v15, vcc, v15, v16
	v_mul_hi_u32 v17, v7, v12
	v_addc_co_u32_e32 v13, vcc, v13, v18, vcc
	v_addc_co_u32_e32 v15, vcc, 0, v17, vcc
	v_mul_lo_u32 v12, v7, v12
	v_add_co_u32_e32 v12, vcc, v13, v12
	v_addc_co_u32_e32 v13, vcc, 0, v15, vcc
	v_add_co_u32_e32 v1, vcc, v1, v12
	v_addc_co_u32_e32 v7, vcc, v7, v13, vcc
	v_mul_lo_u32 v12, s6, v7
	v_mul_hi_u32 v13, s6, v1
	v_add_u32_e32 v12, v13, v12
	v_mul_lo_u32 v13, s7, v1
	v_add_u32_e32 v12, v12, v13
	v_mul_lo_u32 v15, s6, v1
	v_mul_hi_u32 v16, v7, v15
	v_mul_lo_u32 v17, v7, v15
	v_mul_lo_u32 v19, v1, v12
	v_mul_hi_u32 v15, v1, v15
	v_mul_hi_u32 v18, v1, v12
	v_add_co_u32_e32 v15, vcc, v15, v19
	v_addc_co_u32_e32 v18, vcc, 0, v18, vcc
	v_add_co_u32_e32 v15, vcc, v15, v17
	v_mul_hi_u32 v13, v7, v12
	v_addc_co_u32_e32 v15, vcc, v18, v16, vcc
	v_addc_co_u32_e32 v13, vcc, 0, v13, vcc
	v_mul_lo_u32 v12, v7, v12
	v_add_co_u32_e32 v12, vcc, v15, v12
	v_addc_co_u32_e32 v13, vcc, 0, v13, vcc
	v_add_co_u32_e32 v1, vcc, v1, v12
	v_addc_co_u32_e32 v7, vcc, v7, v13, vcc
	v_ashrrev_i32_e32 v15, 31, v11
	v_add_co_u32_e32 v10, vcc, v10, v15
	v_addc_co_u32_e32 v11, vcc, v11, v15, vcc
	v_xor_b32_e32 v17, v10, v15
	v_xor_b32_e32 v16, v11, v15
	v_mad_u64_u32 v[10:11], s[6:7], v17, v7, 0
	v_mul_hi_u32 v12, v17, v1
	v_add_co_u32_e32 v18, vcc, v12, v10
	v_addc_co_u32_e32 v19, vcc, 0, v11, vcc
	v_mad_u64_u32 v[12:13], s[6:7], v16, v1, 0
	v_add_co_u32_e32 v1, vcc, v18, v12
	v_mad_u64_u32 v[10:11], s[6:7], v16, v7, 0
	v_addc_co_u32_e32 v1, vcc, v19, v13, vcc
	v_addc_co_u32_e32 v7, vcc, 0, v11, vcc
	v_add_co_u32_e32 v1, vcc, v1, v10
	v_addc_co_u32_e32 v7, vcc, 0, v7, vcc
	v_mul_lo_u32 v12, s39, v1
	v_mul_lo_u32 v7, s38, v7
	v_mad_u64_u32 v[10:11], s[6:7], s38, v1, 0
	v_add3_u32 v7, v11, v7, v12
	v_sub_u32_e32 v11, v16, v7
	v_mov_b32_e32 v12, s39
	v_sub_co_u32_e32 v10, vcc, v17, v10
	v_subb_co_u32_e64 v11, s[6:7], v11, v12, vcc
	v_subrev_co_u32_e64 v12, s[6:7], s38, v10
	v_subbrev_co_u32_e64 v11, s[6:7], 0, v11, s[6:7]
	v_cmp_le_u32_e64 s[6:7], s39, v11
	v_subb_co_u32_e32 v7, vcc, v16, v7, vcc
	v_cndmask_b32_e64 v13, 0, -1, s[6:7]
	v_cmp_le_u32_e64 s[6:7], s38, v12
	v_cmp_le_u32_e32 vcc, s39, v7
	v_cndmask_b32_e64 v12, 0, -1, s[6:7]
	v_cmp_eq_u32_e64 s[6:7], s39, v11
	v_cndmask_b32_e64 v16, 0, -1, vcc
	v_cmp_le_u32_e32 vcc, s38, v10
	v_cndmask_b32_e64 v11, v13, v12, s[6:7]
	v_cndmask_b32_e64 v10, 0, -1, vcc
	v_cmp_eq_u32_e32 vcc, s39, v7
	v_add_co_u32_e64 v12, s[6:7], 2, v1
	v_add_co_u32_e64 v13, s[6:7], 1, v1
	v_cndmask_b32_e32 v7, v16, v10, vcc
	v_cmp_ne_u32_e32 vcc, 0, v11
	v_cndmask_b32_e32 v10, v13, v12, vcc
	v_cmp_ne_u32_e32 vcc, 0, v7
	v_cndmask_b32_e32 v1, v1, v10, vcc
	v_xor_b32_e32 v7, s36, v15
	v_xor_b32_e32 v1, v1, v7
	v_sub_co_u32_e32 v16, vcc, v1, v7
                                        ; implicit-def: $vgpr10_vgpr11
.LBB10_33:                              ;   in Loop: Header=BB10_27 Depth=2
	s_andn2_saveexec_b64 s[6:7], s[8:9]
	s_cbranch_execz .LBB10_35
; %bb.34:                               ;   in Loop: Header=BB10_27 Depth=2
	v_rcp_iflag_f32_e32 v1, v3
	s_sub_i32 s8, 0, s54
	v_mul_f32_e32 v1, 0x4f7ffffe, v1
	v_cvt_u32_f32_e32 v1, v1
	v_mul_lo_u32 v7, s8, v1
	v_mul_hi_u32 v7, v1, v7
	v_add_u32_e32 v1, v1, v7
	v_mul_hi_u32 v1, v10, v1
	v_mul_lo_u32 v7, v1, s54
	v_sub_u32_e32 v7, v10, v7
	v_add_u32_e32 v11, 1, v1
	v_subrev_u32_e32 v10, s54, v7
	v_cmp_le_u32_e32 vcc, s54, v7
	v_cndmask_b32_e32 v7, v7, v10, vcc
	v_cndmask_b32_e32 v1, v1, v11, vcc
	v_add_u32_e32 v10, 1, v1
	v_cmp_le_u32_e32 vcc, s54, v7
	v_cndmask_b32_e32 v16, v1, v10, vcc
.LBB10_35:                              ;   in Loop: Header=BB10_27 Depth=2
	s_or_b64 exec, exec, s[6:7]
	v_add_co_u32_e32 v1, vcc, 1, v8
	v_addc_co_u32_e64 v7, s[6:7], 0, 0, vcc
	v_mul_lo_u32 v12, v1, s60
	v_mul_lo_u32 v7, v7, s61
	v_mad_u64_u32 v[10:11], s[6:7], v1, s61, -1
	v_add3_u32 v11, v7, v11, v12
	v_or_b32_e32 v1, s33, v11
	v_cmp_ne_u64_e32 vcc, 0, v[0:1]
                                        ; implicit-def: $vgpr12_vgpr13
	s_and_saveexec_b64 s[6:7], vcc
	s_xor_b64 s[8:9], exec, s[6:7]
	s_cbranch_execnz .LBB10_38
; %bb.36:                               ;   in Loop: Header=BB10_27 Depth=2
	s_andn2_saveexec_b64 s[6:7], s[8:9]
	s_cbranch_execnz .LBB10_39
.LBB10_37:                              ;   in Loop: Header=BB10_27 Depth=2
	s_or_b64 exec, exec, s[6:7]
	s_andn2_b64 vcc, exec, s[2:3]
	s_cbranch_vccnz .LBB10_26
	s_branch .LBB10_40
.LBB10_38:                              ;   in Loop: Header=BB10_27 Depth=2
	s_add_u32 s6, s54, s33
	s_mov_b32 s36, s33
	s_mov_b32 s37, s33
	s_addc_u32 s7, s33, s33
	s_xor_b64 s[38:39], s[6:7], s[36:37]
	v_cvt_f32_u32_e32 v1, s38
	v_cvt_f32_u32_e32 v3, s39
	s_sub_u32 s6, 0, s38
	s_subb_u32 s7, 0, s39
	v_mac_f32_e32 v1, 0x4f800000, v3
	v_rcp_f32_e32 v1, v1
	v_mul_f32_e32 v1, 0x5f7ffffc, v1
	v_mul_f32_e32 v3, 0x2f800000, v1
	v_trunc_f32_e32 v3, v3
	v_mac_f32_e32 v1, 0xcf800000, v3
	v_cvt_u32_f32_e32 v3, v3
	v_cvt_u32_f32_e32 v1, v1
	v_mul_lo_u32 v7, s6, v3
	v_mul_hi_u32 v13, s6, v1
	v_mul_lo_u32 v12, s7, v1
	v_add_u32_e32 v7, v13, v7
	v_mul_lo_u32 v15, s6, v1
	v_add_u32_e32 v7, v7, v12
	v_mul_lo_u32 v13, v1, v7
	v_mul_hi_u32 v17, v1, v15
	v_mul_hi_u32 v12, v1, v7
	v_add_co_u32_e32 v13, vcc, v17, v13
	v_addc_co_u32_e32 v12, vcc, 0, v12, vcc
	v_mul_hi_u32 v18, v3, v15
	v_mul_lo_u32 v15, v3, v15
	v_add_co_u32_e32 v13, vcc, v13, v15
	v_mul_hi_u32 v17, v3, v7
	v_addc_co_u32_e32 v12, vcc, v12, v18, vcc
	v_addc_co_u32_e32 v13, vcc, 0, v17, vcc
	v_mul_lo_u32 v7, v3, v7
	v_add_co_u32_e32 v7, vcc, v12, v7
	v_addc_co_u32_e32 v12, vcc, 0, v13, vcc
	v_add_co_u32_e32 v1, vcc, v1, v7
	v_addc_co_u32_e32 v3, vcc, v3, v12, vcc
	v_mul_lo_u32 v7, s6, v3
	v_mul_hi_u32 v12, s6, v1
	v_add_u32_e32 v7, v12, v7
	v_mul_lo_u32 v12, s7, v1
	v_add_u32_e32 v7, v7, v12
	v_mul_lo_u32 v13, s6, v1
	v_mul_hi_u32 v15, v3, v13
	v_mul_lo_u32 v17, v3, v13
	v_mul_lo_u32 v19, v1, v7
	v_mul_hi_u32 v13, v1, v13
	v_mul_hi_u32 v18, v1, v7
	v_add_co_u32_e32 v13, vcc, v13, v19
	v_addc_co_u32_e32 v18, vcc, 0, v18, vcc
	v_add_co_u32_e32 v13, vcc, v13, v17
	v_mul_hi_u32 v12, v3, v7
	v_addc_co_u32_e32 v13, vcc, v18, v15, vcc
	v_addc_co_u32_e32 v12, vcc, 0, v12, vcc
	v_mul_lo_u32 v7, v3, v7
	v_add_co_u32_e32 v7, vcc, v13, v7
	v_addc_co_u32_e32 v12, vcc, 0, v12, vcc
	v_add_co_u32_e32 v1, vcc, v1, v7
	v_addc_co_u32_e32 v3, vcc, v3, v12, vcc
	v_ashrrev_i32_e32 v7, 31, v11
	v_add_co_u32_e32 v10, vcc, v10, v7
	v_addc_co_u32_e32 v11, vcc, v11, v7, vcc
	v_xor_b32_e32 v17, v10, v7
	v_xor_b32_e32 v15, v11, v7
	v_mad_u64_u32 v[10:11], s[6:7], v17, v3, 0
	v_mul_hi_u32 v12, v17, v1
	v_add_co_u32_e32 v18, vcc, v12, v10
	v_addc_co_u32_e32 v19, vcc, 0, v11, vcc
	v_mad_u64_u32 v[12:13], s[6:7], v15, v1, 0
	v_add_co_u32_e32 v1, vcc, v18, v12
	v_mad_u64_u32 v[10:11], s[6:7], v15, v3, 0
	v_addc_co_u32_e32 v1, vcc, v19, v13, vcc
	v_addc_co_u32_e32 v3, vcc, 0, v11, vcc
	v_add_co_u32_e32 v1, vcc, v1, v10
	v_addc_co_u32_e32 v3, vcc, 0, v3, vcc
	v_mul_lo_u32 v12, s39, v1
	v_mul_lo_u32 v3, s38, v3
	v_mad_u64_u32 v[10:11], s[6:7], s38, v1, 0
	v_add3_u32 v3, v11, v3, v12
	v_sub_u32_e32 v11, v15, v3
	v_mov_b32_e32 v12, s39
	v_sub_co_u32_e32 v10, vcc, v17, v10
	v_subb_co_u32_e64 v11, s[6:7], v11, v12, vcc
	v_subrev_co_u32_e64 v12, s[6:7], s38, v10
	v_subbrev_co_u32_e64 v11, s[6:7], 0, v11, s[6:7]
	v_cmp_le_u32_e64 s[6:7], s39, v11
	v_subb_co_u32_e32 v3, vcc, v15, v3, vcc
	v_cndmask_b32_e64 v13, 0, -1, s[6:7]
	v_cmp_le_u32_e64 s[6:7], s38, v12
	v_cmp_le_u32_e32 vcc, s39, v3
	v_cndmask_b32_e64 v12, 0, -1, s[6:7]
	v_cmp_eq_u32_e64 s[6:7], s39, v11
	v_cndmask_b32_e64 v15, 0, -1, vcc
	v_cmp_le_u32_e32 vcc, s38, v10
	v_cndmask_b32_e64 v11, v13, v12, s[6:7]
	v_cndmask_b32_e64 v10, 0, -1, vcc
	v_cmp_eq_u32_e32 vcc, s39, v3
	v_add_co_u32_e64 v12, s[6:7], 2, v1
	v_add_co_u32_e64 v13, s[6:7], 1, v1
	v_cndmask_b32_e32 v3, v15, v10, vcc
	v_cmp_ne_u32_e32 vcc, 0, v11
	v_cndmask_b32_e32 v10, v13, v12, vcc
	v_cmp_ne_u32_e32 vcc, 0, v3
	v_cndmask_b32_e32 v1, v1, v10, vcc
	v_xor_b32_e32 v3, s36, v7
	v_xor_b32_e32 v1, v1, v3
	v_sub_co_u32_e32 v12, vcc, v1, v3
                                        ; implicit-def: $vgpr3
                                        ; implicit-def: $vgpr10_vgpr11
	s_andn2_saveexec_b64 s[6:7], s[8:9]
	s_cbranch_execz .LBB10_37
.LBB10_39:                              ;   in Loop: Header=BB10_27 Depth=2
	v_rcp_iflag_f32_e32 v1, v3
	s_sub_i32 s8, 0, s54
	v_mul_f32_e32 v1, 0x4f7ffffe, v1
	v_cvt_u32_f32_e32 v1, v1
	v_mul_lo_u32 v3, s8, v1
	v_mul_hi_u32 v3, v1, v3
	v_add_u32_e32 v1, v1, v3
	v_mul_hi_u32 v1, v10, v1
	v_mul_lo_u32 v3, v1, s54
	v_sub_u32_e32 v3, v10, v3
	v_add_u32_e32 v7, 1, v1
	v_subrev_u32_e32 v10, s54, v3
	v_cmp_le_u32_e32 vcc, s54, v3
	v_cndmask_b32_e32 v3, v3, v10, vcc
	v_cndmask_b32_e32 v1, v1, v7, vcc
	v_add_u32_e32 v7, 1, v1
	v_cmp_le_u32_e32 vcc, s54, v3
	v_cndmask_b32_e32 v12, v1, v7, vcc
	s_or_b64 exec, exec, s[6:7]
	s_andn2_b64 vcc, exec, s[2:3]
	s_cbranch_vccnz .LBB10_26
.LBB10_40:                              ;   in Loop: Header=BB10_27 Depth=2
	v_lshlrev_b64 v[10:11], 1, v[8:9]
	v_add_co_u32_e32 v10, vcc, v5, v10
	v_add_u32_e32 v7, 1, v12
	v_addc_co_u32_e32 v11, vcc, v43, v11, vcc
	v_mad_u64_u32 v[12:13], s[6:7], v14, s61, v[16:17]
	v_add_u32_e32 v1, v6, v14
	v_ashrrev_i32_e32 v13, 31, v12
	v_mad_u64_u32 v[14:15], s[8:9], s17, v1, v[16:17]
	v_add_co_u32_e32 v1, vcc, 1, v12
	v_addc_co_u32_e32 v3, vcc, 0, v13, vcc
	v_mul_lo_u32 v3, s54, v3
	v_mul_lo_u32 v9, s33, v1
	v_mad_u64_u32 v[16:17], s[8:9], s54, v1, -1
	v_cmp_gt_i32_e64 s[6:7], v7, v12
	v_add3_u32 v17, v9, v17, v3
	s_mov_b64 s[36:37], s[22:23]
	s_mov_b32 s38, s20
	s_branch .LBB10_42
.LBB10_41:                              ;   in Loop: Header=BB10_42 Depth=3
	s_or_b64 exec, exec, s[40:41]
	s_add_i32 s38, s38, 1
	s_add_u32 s36, s36, s24
	v_cmp_lt_i32_e32 vcc, s38, v38
	s_addc_u32 s37, s37, s25
	s_cbranch_vccz .LBB10_26
.LBB10_42:                              ;   Parent Loop BB10_12 Depth=1
                                        ;     Parent Loop BB10_27 Depth=2
                                        ; =>    This Loop Header: Depth=3
                                        ;         Child Loop BB10_54 Depth 4
                                        ;           Child Loop BB10_69 Depth 5
	s_ashr_i32 s39, s38, 31
	s_add_u32 s8, s38, 1
	s_addc_u32 s9, s39, 0
	s_mul_i32 s29, s8, s11
	s_mul_hi_u32 s40, s8, s10
	s_add_i32 s29, s40, s29
	s_mul_i32 s9, s9, s10
	s_add_i32 s29, s29, s9
	s_mul_i32 s8, s8, s10
	s_add_u32 s40, s8, -1
	s_addc_u32 s41, s29, -1
	s_or_b64 s[8:9], s[40:41], s[18:19]
	s_mov_b32 s29, s9
	s_cmp_lg_u64 s[28:29], 0
	s_cbranch_scc0 .LBB10_81
; %bb.43:                               ;   in Loop: Header=BB10_42 Depth=3
	s_add_u32 s8, s18, s19
	s_mov_b32 s42, s19
	s_mov_b32 s43, s19
	s_addc_u32 s9, s19, s19
	s_xor_b64 s[44:45], s[8:9], s[42:43]
	v_cvt_f32_u32_e32 v1, s44
	v_cvt_f32_u32_e32 v3, s45
	s_sub_u32 s8, 0, s44
	s_subb_u32 s9, 0, s45
	s_ashr_i32 s46, s41, 31
	v_mac_f32_e32 v1, 0x4f800000, v3
	v_rcp_f32_e32 v1, v1
	s_mov_b32 s47, s46
	v_mul_f32_e32 v1, 0x5f7ffffc, v1
	v_mul_f32_e32 v3, 0x2f800000, v1
	v_trunc_f32_e32 v3, v3
	v_mac_f32_e32 v1, 0xcf800000, v3
	v_cvt_u32_f32_e32 v3, v3
	v_cvt_u32_f32_e32 v1, v1
	v_mul_lo_u32 v9, s8, v3
	v_mul_hi_u32 v18, s8, v1
	v_mul_lo_u32 v15, s9, v1
	v_add_u32_e32 v9, v18, v9
	v_mul_lo_u32 v19, s8, v1
	v_add_u32_e32 v9, v9, v15
	v_mul_lo_u32 v18, v1, v9
	v_mul_hi_u32 v20, v1, v19
	v_mul_hi_u32 v15, v1, v9
	v_add_co_u32_e32 v18, vcc, v20, v18
	v_addc_co_u32_e32 v15, vcc, 0, v15, vcc
	v_mul_hi_u32 v21, v3, v19
	v_mul_lo_u32 v19, v3, v19
	v_add_co_u32_e32 v18, vcc, v18, v19
	v_mul_hi_u32 v20, v3, v9
	v_addc_co_u32_e32 v15, vcc, v15, v21, vcc
	v_addc_co_u32_e32 v18, vcc, 0, v20, vcc
	v_mul_lo_u32 v9, v3, v9
	v_add_co_u32_e32 v9, vcc, v15, v9
	v_addc_co_u32_e32 v15, vcc, 0, v18, vcc
	v_add_co_u32_e32 v1, vcc, v1, v9
	v_addc_co_u32_e32 v3, vcc, v3, v15, vcc
	v_mul_lo_u32 v9, s8, v3
	v_mul_hi_u32 v15, s8, v1
	v_add_u32_e32 v9, v15, v9
	v_mul_lo_u32 v15, s9, v1
	v_add_u32_e32 v9, v9, v15
	v_mul_lo_u32 v18, s8, v1
	v_mul_hi_u32 v19, v3, v18
	v_mul_lo_u32 v20, v3, v18
	v_mul_lo_u32 v22, v1, v9
	v_mul_hi_u32 v18, v1, v18
	v_mul_hi_u32 v21, v1, v9
	v_add_co_u32_e32 v18, vcc, v18, v22
	v_addc_co_u32_e32 v21, vcc, 0, v21, vcc
	v_add_co_u32_e32 v18, vcc, v18, v20
	v_mul_hi_u32 v15, v3, v9
	v_addc_co_u32_e32 v18, vcc, v21, v19, vcc
	v_addc_co_u32_e32 v15, vcc, 0, v15, vcc
	v_mul_lo_u32 v9, v3, v9
	v_add_co_u32_e32 v9, vcc, v18, v9
	v_addc_co_u32_e32 v15, vcc, 0, v15, vcc
	s_add_u32 s8, s40, s46
	v_add_co_u32_e32 v1, vcc, v1, v9
	s_addc_u32 s9, s41, s46
	v_addc_co_u32_e32 v3, vcc, v3, v15, vcc
	s_xor_b64 s[48:49], s[8:9], s[46:47]
	v_mul_lo_u32 v15, s48, v3
	v_mul_hi_u32 v18, s48, v1
	v_mul_hi_u32 v9, s48, v3
	v_add_co_u32_e32 v15, vcc, v18, v15
	v_addc_co_u32_e32 v9, vcc, 0, v9, vcc
	v_mul_hi_u32 v19, s49, v1
	v_mul_lo_u32 v1, s49, v1
	v_add_co_u32_e32 v1, vcc, v15, v1
	v_mul_hi_u32 v18, s49, v3
	v_addc_co_u32_e32 v1, vcc, v9, v19, vcc
	v_addc_co_u32_e32 v9, vcc, 0, v18, vcc
	v_mul_lo_u32 v3, s49, v3
	v_add_co_u32_e32 v1, vcc, v1, v3
	v_addc_co_u32_e32 v3, vcc, 0, v9, vcc
	v_mul_lo_u32 v3, s44, v3
	v_mul_hi_u32 v9, s44, v1
	v_add_u32_e32 v3, v9, v3
	v_mul_lo_u32 v9, s45, v1
	v_add_u32_e32 v3, v3, v9
	v_mul_lo_u32 v15, s44, v1
	v_sub_u32_e32 v9, s49, v3
	v_mov_b32_e32 v18, s45
	v_sub_co_u32_e32 v15, vcc, s48, v15
	v_subb_co_u32_e64 v9, s[8:9], v9, v18, vcc
	v_subrev_co_u32_e64 v18, s[8:9], s44, v15
	v_subbrev_co_u32_e64 v9, s[8:9], 0, v9, s[8:9]
	v_cmp_le_u32_e64 s[8:9], s45, v9
	v_cndmask_b32_e64 v19, 0, -1, s[8:9]
	v_cmp_le_u32_e64 s[8:9], s44, v18
	v_cndmask_b32_e64 v18, 0, -1, s[8:9]
	v_cmp_eq_u32_e64 s[8:9], s45, v9
	v_cndmask_b32_e64 v9, v19, v18, s[8:9]
	v_add_co_u32_e64 v18, s[8:9], 1, v1
	v_add_co_u32_e64 v19, s[8:9], 2, v1
	v_cmp_ne_u32_e64 s[8:9], 0, v9
	v_cndmask_b32_e64 v9, v18, v19, s[8:9]
	v_mov_b32_e32 v18, s49
	v_subb_co_u32_e32 v3, vcc, v18, v3, vcc
	v_cmp_le_u32_e32 vcc, s45, v3
	v_cndmask_b32_e64 v18, 0, -1, vcc
	v_cmp_le_u32_e32 vcc, s44, v15
	v_cndmask_b32_e64 v15, 0, -1, vcc
	v_cmp_eq_u32_e32 vcc, s45, v3
	v_cndmask_b32_e32 v3, v18, v15, vcc
	v_cmp_ne_u32_e32 vcc, 0, v3
	v_cndmask_b32_e32 v1, v1, v9, vcc
	s_xor_b64 s[8:9], s[46:47], s[42:43]
	v_xor_b32_e32 v1, s8, v1
	v_subrev_co_u32_e32 v18, vcc, s8, v1
	v_cvt_f32_u32_e32 v1, s18
	s_cbranch_execnz .LBB10_45
.LBB10_44:                              ;   in Loop: Header=BB10_42 Depth=3
	v_rcp_iflag_f32_e32 v3, v1
	s_sub_i32 s8, 0, s18
	v_mul_f32_e32 v3, 0x4f7ffffe, v3
	v_cvt_u32_f32_e32 v3, v3
	v_mul_lo_u32 v9, s8, v3
	v_mul_hi_u32 v9, v3, v9
	v_add_u32_e32 v3, v3, v9
	v_mul_hi_u32 v3, s40, v3
	v_mul_lo_u32 v15, v3, s18
	v_sub_u32_e32 v15, s40, v15
	v_add_u32_e32 v9, 1, v3
	v_subrev_u32_e32 v18, s18, v15
	v_cmp_le_u32_e32 vcc, s18, v15
	v_cndmask_b32_e32 v15, v15, v18, vcc
	v_cndmask_b32_e32 v3, v3, v9, vcc
	v_add_u32_e32 v9, 1, v3
	v_cmp_le_u32_e32 vcc, s18, v15
	v_cndmask_b32_e32 v18, v3, v9, vcc
.LBB10_45:                              ;   in Loop: Header=BB10_42 Depth=3
	s_or_b64 s[8:9], s[38:39], s[18:19]
	s_mov_b32 s29, s9
	s_cmp_lg_u64 s[28:29], 0
	s_cbranch_scc0 .LBB10_82
; %bb.46:                               ;   in Loop: Header=BB10_42 Depth=3
	s_add_u32 s8, s18, s19
	s_mov_b32 s40, s19
	s_mov_b32 s41, s19
	s_addc_u32 s9, s19, s19
	s_xor_b64 s[42:43], s[8:9], s[40:41]
	v_cvt_f32_u32_e32 v3, s42
	v_cvt_f32_u32_e32 v9, s43
	s_sub_u32 s8, 0, s42
	s_subb_u32 s9, 0, s43
	v_mac_f32_e32 v3, 0x4f800000, v9
	v_rcp_f32_e32 v3, v3
	v_mul_f32_e32 v3, 0x5f7ffffc, v3
	v_mul_f32_e32 v9, 0x2f800000, v3
	v_trunc_f32_e32 v9, v9
	v_mac_f32_e32 v3, 0xcf800000, v9
	v_cvt_u32_f32_e32 v9, v9
	v_cvt_u32_f32_e32 v3, v3
	v_readfirstlane_b32 s29, v9
	v_readfirstlane_b32 s44, v3
	s_mul_i32 s45, s8, s29
	s_mul_hi_u32 s47, s8, s44
	s_mul_i32 s46, s9, s44
	s_add_i32 s45, s47, s45
	s_add_i32 s45, s45, s46
	s_mul_i32 s48, s8, s44
	s_mul_hi_u32 s46, s44, s45
	s_mul_i32 s47, s44, s45
	s_mul_hi_u32 s44, s44, s48
	s_add_u32 s44, s44, s47
	s_addc_u32 s46, 0, s46
	s_mul_hi_u32 s49, s29, s48
	s_mul_i32 s48, s29, s48
	s_add_u32 s44, s44, s48
	s_mul_hi_u32 s47, s29, s45
	s_addc_u32 s44, s46, s49
	s_addc_u32 s46, s47, 0
	s_mul_i32 s45, s29, s45
	s_add_u32 s44, s44, s45
	s_addc_u32 s45, 0, s46
	v_add_co_u32_e32 v3, vcc, s44, v3
	s_cmp_lg_u64 vcc, 0
	s_addc_u32 s29, s29, s45
	v_readfirstlane_b32 s45, v3
	s_mul_i32 s44, s8, s29
	s_mul_hi_u32 s46, s8, s45
	s_add_i32 s44, s46, s44
	s_mul_i32 s9, s9, s45
	s_add_i32 s44, s44, s9
	s_mul_i32 s8, s8, s45
	s_mul_hi_u32 s46, s29, s8
	s_mul_i32 s47, s29, s8
	s_mul_i32 s49, s45, s44
	s_mul_hi_u32 s8, s45, s8
	s_mul_hi_u32 s48, s45, s44
	s_add_u32 s8, s8, s49
	s_addc_u32 s45, 0, s48
	s_add_u32 s8, s8, s47
	s_mul_hi_u32 s9, s29, s44
	s_addc_u32 s8, s45, s46
	s_addc_u32 s9, s9, 0
	s_mul_i32 s44, s29, s44
	s_add_u32 s8, s8, s44
	s_addc_u32 s9, 0, s9
	v_add_co_u32_e32 v3, vcc, s8, v3
	s_cmp_lg_u64 vcc, 0
	s_addc_u32 s29, s29, s9
	s_ashr_i32 s44, s39, 31
	s_add_u32 s8, s38, s44
	s_mov_b32 s45, s44
	s_addc_u32 s9, s39, s44
	s_xor_b64 s[46:47], s[8:9], s[44:45]
	v_readfirstlane_b32 s48, v3
	s_mul_i32 s9, s46, s29
	s_mul_hi_u32 s49, s46, s48
	s_mul_hi_u32 s8, s46, s29
	s_add_u32 s9, s49, s9
	s_addc_u32 s8, 0, s8
	s_mul_hi_u32 s50, s47, s48
	s_mul_i32 s48, s47, s48
	s_add_u32 s9, s9, s48
	s_mul_hi_u32 s49, s47, s29
	s_addc_u32 s8, s8, s50
	s_addc_u32 s9, s49, 0
	s_mul_i32 s29, s47, s29
	s_add_u32 s29, s8, s29
	s_addc_u32 s48, 0, s9
	s_mul_i32 s8, s42, s48
	s_mul_hi_u32 s9, s42, s29
	s_add_i32 s8, s9, s8
	s_mul_i32 s9, s43, s29
	s_add_i32 s49, s8, s9
	s_mul_i32 s9, s42, s29
	v_mov_b32_e32 v3, s9
	s_sub_i32 s8, s47, s49
	v_sub_co_u32_e32 v3, vcc, s46, v3
	s_cmp_lg_u64 vcc, 0
	s_subb_u32 s46, s8, s43
	v_subrev_co_u32_e64 v9, s[8:9], s42, v3
	s_cmp_lg_u64 s[8:9], 0
	s_subb_u32 s8, s46, 0
	s_cmp_ge_u32 s8, s43
	v_readfirstlane_b32 s46, v9
	s_cselect_b32 s9, -1, 0
	s_cmp_ge_u32 s46, s42
	s_cselect_b32 s46, -1, 0
	s_cmp_eq_u32 s8, s43
	s_cselect_b32 s8, s46, s9
	s_add_u32 s9, s29, 1
	s_addc_u32 s46, s48, 0
	s_add_u32 s50, s29, 2
	s_addc_u32 s51, s48, 0
	s_cmp_lg_u32 s8, 0
	s_cselect_b32 s8, s50, s9
	s_cselect_b32 s9, s51, s46
	s_cmp_lg_u64 vcc, 0
	s_subb_u32 s46, s47, s49
	s_cmp_ge_u32 s46, s43
	v_readfirstlane_b32 s49, v3
	s_cselect_b32 s47, -1, 0
	s_cmp_ge_u32 s49, s42
	s_cselect_b32 s42, -1, 0
	s_cmp_eq_u32 s46, s43
	s_cselect_b32 s42, s42, s47
	s_cmp_lg_u32 s42, 0
	s_cselect_b32 s9, s9, s48
	s_cselect_b32 s8, s8, s29
	s_xor_b64 s[40:41], s[44:45], s[40:41]
	s_xor_b64 s[8:9], s[8:9], s[40:41]
	s_sub_u32 s42, s8, s40
	s_subb_u32 s43, s9, s41
	s_cbranch_execnz .LBB10_48
.LBB10_47:                              ;   in Loop: Header=BB10_42 Depth=3
	v_rcp_iflag_f32_e32 v3, v1
	s_sub_i32 s8, 0, s18
	s_mov_b32 s43, s28
	v_mul_f32_e32 v3, 0x4f7ffffe, v3
	v_cvt_u32_f32_e32 v3, v3
	v_readfirstlane_b32 s9, v3
	s_mul_i32 s8, s8, s9
	s_mul_hi_u32 s8, s9, s8
	s_add_i32 s9, s9, s8
	s_mul_hi_u32 s8, s38, s9
	s_mul_i32 s29, s8, s18
	s_sub_i32 s29, s38, s29
	s_add_i32 s9, s8, 1
	s_sub_i32 s40, s29, s18
	s_cmp_ge_u32 s29, s18
	s_cselect_b32 s8, s9, s8
	s_cselect_b32 s29, s40, s29
	s_add_i32 s9, s8, 1
	s_cmp_ge_u32 s29, s18
	s_cselect_b32 s42, s9, s8
.LBB10_48:                              ;   in Loop: Header=BB10_42 Depth=3
	s_mul_i32 s8, s42, s19
	s_mul_hi_u32 s9, s42, s18
	s_add_i32 s8, s9, s8
	s_mul_i32 s9, s43, s18
	s_add_i32 s8, s8, s9
	s_mul_i32 s9, s42, s18
	s_sub_u32 s9, s38, s9
	s_subb_u32 s8, s39, s8
	s_mul_i32 s29, s9, s11
	s_mul_hi_u32 s39, s9, s10
	s_add_i32 s29, s39, s29
	s_mul_i32 s8, s8, s10
	s_add_i32 s41, s29, s8
	s_mul_i32 s40, s9, s10
	s_or_b64 s[8:9], s[40:41], s[18:19]
	s_mov_b32 s29, s9
	s_cmp_lg_u64 s[28:29], 0
	s_cbranch_scc0 .LBB10_83
; %bb.49:                               ;   in Loop: Header=BB10_42 Depth=3
	s_add_u32 s8, s18, s19
	s_mov_b32 s44, s19
	s_mov_b32 s45, s19
	s_addc_u32 s9, s19, s19
	s_xor_b64 s[46:47], s[8:9], s[44:45]
	v_cvt_f32_u32_e32 v3, s46
	v_cvt_f32_u32_e32 v9, s47
	s_sub_u32 s8, 0, s46
	s_subb_u32 s9, 0, s47
	s_ashr_i32 s48, s41, 31
	v_mac_f32_e32 v3, 0x4f800000, v9
	v_rcp_f32_e32 v3, v3
	s_mov_b32 s49, s48
	v_mul_f32_e32 v3, 0x5f7ffffc, v3
	v_mul_f32_e32 v9, 0x2f800000, v3
	v_trunc_f32_e32 v9, v9
	v_mac_f32_e32 v3, 0xcf800000, v9
	v_cvt_u32_f32_e32 v9, v9
	v_cvt_u32_f32_e32 v3, v3
	v_mul_lo_u32 v15, s8, v9
	v_mul_hi_u32 v20, s8, v3
	v_mul_lo_u32 v19, s9, v3
	v_add_u32_e32 v15, v20, v15
	v_mul_lo_u32 v21, s8, v3
	v_add_u32_e32 v15, v15, v19
	v_mul_lo_u32 v20, v3, v15
	v_mul_hi_u32 v22, v3, v21
	v_mul_hi_u32 v19, v3, v15
	v_add_co_u32_e32 v20, vcc, v22, v20
	v_addc_co_u32_e32 v19, vcc, 0, v19, vcc
	v_mul_hi_u32 v23, v9, v21
	v_mul_lo_u32 v21, v9, v21
	v_add_co_u32_e32 v20, vcc, v20, v21
	v_mul_hi_u32 v22, v9, v15
	v_addc_co_u32_e32 v19, vcc, v19, v23, vcc
	v_addc_co_u32_e32 v20, vcc, 0, v22, vcc
	v_mul_lo_u32 v15, v9, v15
	v_add_co_u32_e32 v15, vcc, v19, v15
	v_addc_co_u32_e32 v19, vcc, 0, v20, vcc
	v_add_co_u32_e32 v3, vcc, v3, v15
	v_addc_co_u32_e32 v9, vcc, v9, v19, vcc
	v_mul_lo_u32 v15, s8, v9
	v_mul_hi_u32 v19, s8, v3
	v_add_u32_e32 v15, v19, v15
	v_mul_lo_u32 v19, s9, v3
	v_add_u32_e32 v15, v15, v19
	v_mul_lo_u32 v20, s8, v3
	v_mul_hi_u32 v21, v9, v20
	v_mul_lo_u32 v22, v9, v20
	v_mul_lo_u32 v24, v3, v15
	v_mul_hi_u32 v20, v3, v20
	v_mul_hi_u32 v23, v3, v15
	v_add_co_u32_e32 v20, vcc, v20, v24
	v_addc_co_u32_e32 v23, vcc, 0, v23, vcc
	v_add_co_u32_e32 v20, vcc, v20, v22
	v_mul_hi_u32 v19, v9, v15
	v_addc_co_u32_e32 v20, vcc, v23, v21, vcc
	v_addc_co_u32_e32 v19, vcc, 0, v19, vcc
	v_mul_lo_u32 v15, v9, v15
	v_add_co_u32_e32 v15, vcc, v20, v15
	v_addc_co_u32_e32 v19, vcc, 0, v19, vcc
	s_add_u32 s8, s40, s48
	v_add_co_u32_e32 v3, vcc, v3, v15
	s_addc_u32 s9, s41, s48
	v_addc_co_u32_e32 v9, vcc, v9, v19, vcc
	s_xor_b64 s[50:51], s[8:9], s[48:49]
	v_mul_lo_u32 v19, s50, v9
	v_mul_hi_u32 v20, s50, v3
	v_mul_hi_u32 v15, s50, v9
	v_add_co_u32_e32 v19, vcc, v20, v19
	v_addc_co_u32_e32 v15, vcc, 0, v15, vcc
	v_mul_hi_u32 v21, s51, v3
	v_mul_lo_u32 v3, s51, v3
	v_add_co_u32_e32 v3, vcc, v19, v3
	v_mul_hi_u32 v20, s51, v9
	v_addc_co_u32_e32 v3, vcc, v15, v21, vcc
	v_addc_co_u32_e32 v15, vcc, 0, v20, vcc
	v_mul_lo_u32 v9, s51, v9
	v_add_co_u32_e32 v3, vcc, v3, v9
	v_addc_co_u32_e32 v9, vcc, 0, v15, vcc
	v_mul_lo_u32 v9, s46, v9
	v_mul_hi_u32 v15, s46, v3
	v_add_u32_e32 v9, v15, v9
	v_mul_lo_u32 v15, s47, v3
	v_add_u32_e32 v9, v9, v15
	v_mul_lo_u32 v19, s46, v3
	v_sub_u32_e32 v15, s51, v9
	v_mov_b32_e32 v20, s47
	v_sub_co_u32_e32 v19, vcc, s50, v19
	v_subb_co_u32_e64 v15, s[8:9], v15, v20, vcc
	v_subrev_co_u32_e64 v20, s[8:9], s46, v19
	v_subbrev_co_u32_e64 v15, s[8:9], 0, v15, s[8:9]
	v_cmp_le_u32_e64 s[8:9], s47, v15
	v_cndmask_b32_e64 v21, 0, -1, s[8:9]
	v_cmp_le_u32_e64 s[8:9], s46, v20
	v_cndmask_b32_e64 v20, 0, -1, s[8:9]
	v_cmp_eq_u32_e64 s[8:9], s47, v15
	v_cndmask_b32_e64 v15, v21, v20, s[8:9]
	v_add_co_u32_e64 v20, s[8:9], 1, v3
	v_add_co_u32_e64 v21, s[8:9], 2, v3
	v_cmp_ne_u32_e64 s[8:9], 0, v15
	v_cndmask_b32_e64 v15, v20, v21, s[8:9]
	v_mov_b32_e32 v20, s51
	v_subb_co_u32_e32 v9, vcc, v20, v9, vcc
	v_cmp_le_u32_e32 vcc, s47, v9
	v_cndmask_b32_e64 v20, 0, -1, vcc
	v_cmp_le_u32_e32 vcc, s46, v19
	v_cndmask_b32_e64 v19, 0, -1, vcc
	v_cmp_eq_u32_e32 vcc, s47, v9
	v_cndmask_b32_e32 v9, v20, v19, vcc
	v_cmp_ne_u32_e32 vcc, 0, v9
	v_cndmask_b32_e32 v3, v3, v15, vcc
	s_xor_b64 s[8:9], s[48:49], s[44:45]
	v_xor_b32_e32 v3, s8, v3
	v_subrev_co_u32_e32 v20, vcc, s8, v3
	s_cbranch_execnz .LBB10_51
.LBB10_50:                              ;   in Loop: Header=BB10_42 Depth=3
	v_rcp_iflag_f32_e32 v1, v1
	s_sub_i32 s8, 0, s18
	v_mul_f32_e32 v1, 0x4f7ffffe, v1
	v_cvt_u32_f32_e32 v1, v1
	v_mul_lo_u32 v3, s8, v1
	v_mul_hi_u32 v3, v1, v3
	v_add_u32_e32 v1, v1, v3
	v_mul_hi_u32 v1, s40, v1
	v_mul_lo_u32 v9, v1, s18
	v_sub_u32_e32 v9, s40, v9
	v_add_u32_e32 v3, 1, v1
	v_subrev_u32_e32 v15, s18, v9
	v_cmp_le_u32_e32 vcc, s18, v9
	v_cndmask_b32_e32 v9, v9, v15, vcc
	v_cndmask_b32_e32 v1, v1, v3, vcc
	v_add_u32_e32 v3, 1, v1
	v_cmp_le_u32_e32 vcc, s18, v9
	v_cndmask_b32_e32 v20, v1, v3, vcc
.LBB10_51:                              ;   in Loop: Header=BB10_42 Depth=3
	s_and_saveexec_b64 s[40:41], s[4:5]
	s_cbranch_execz .LBB10_41
; %bb.52:                               ;   in Loop: Header=BB10_42 Depth=3
	s_mul_i32 s8, s42, s10
	v_add_u32_e32 v1, s8, v20
	v_sub_u32_e32 v1, v18, v1
	v_add_u32_e32 v9, 1, v1
	s_mov_b64 s[42:43], 0
	v_mov_b32_e32 v18, v14
	v_mov_b32_e32 v20, v4
	s_branch .LBB10_54
.LBB10_53:                              ;   in Loop: Header=BB10_54 Depth=4
	s_or_b64 exec, exec, s[44:45]
	v_add_u32_e32 v20, 1, v20
	v_cmp_ge_i32_e32 vcc, v20, v42
	s_or_b64 s[42:43], vcc, s[42:43]
	v_add_u32_e32 v18, s17, v18
	s_andn2_b64 exec, exec, s[42:43]
	s_cbranch_execz .LBB10_41
.LBB10_54:                              ;   Parent Loop BB10_12 Depth=1
                                        ;     Parent Loop BB10_27 Depth=2
                                        ;       Parent Loop BB10_42 Depth=3
                                        ; =>      This Loop Header: Depth=4
                                        ;           Child Loop BB10_69 Depth 5
	s_and_saveexec_b64 s[44:45], s[6:7]
	s_cbranch_execz .LBB10_53
; %bb.55:                               ;   in Loop: Header=BB10_54 Depth=4
	v_ashrrev_i32_e32 v3, 31, v20
	v_add_co_u32_e32 v1, vcc, 1, v20
	v_addc_co_u32_e32 v15, vcc, 0, v3, vcc
	v_mul_lo_u32 v19, v1, s12
	v_mul_lo_u32 v15, v15, s21
	v_mad_u64_u32 v[22:23], s[8:9], v1, s21, -1
	v_add3_u32 v23, v15, v23, v19
	v_or_b32_e32 v1, s58, v23
	v_cmp_ne_u64_e32 vcc, 0, v[0:1]
                                        ; implicit-def: $vgpr24_vgpr25
	s_and_saveexec_b64 s[8:9], vcc
	s_xor_b64 s[46:47], exec, s[8:9]
	s_cbranch_execz .LBB10_57
; %bb.56:                               ;   in Loop: Header=BB10_54 Depth=4
	s_add_u32 s8, s59, s58
	s_mov_b32 s48, s58
	s_mov_b32 s49, s58
	s_addc_u32 s9, s58, s58
	s_xor_b64 s[50:51], s[8:9], s[48:49]
	v_cvt_f32_u32_e32 v1, s50
	v_cvt_f32_u32_e32 v15, s51
	s_sub_u32 s8, 0, s50
	s_subb_u32 s9, 0, s51
	v_mac_f32_e32 v1, 0x4f800000, v15
	v_rcp_f32_e32 v1, v1
	v_mul_f32_e32 v1, 0x5f7ffffc, v1
	v_mul_f32_e32 v15, 0x2f800000, v1
	v_trunc_f32_e32 v15, v15
	v_mac_f32_e32 v1, 0xcf800000, v15
	v_cvt_u32_f32_e32 v15, v15
	v_cvt_u32_f32_e32 v1, v1
	v_mul_lo_u32 v19, s8, v15
	v_mul_hi_u32 v24, s8, v1
	v_mul_lo_u32 v21, s9, v1
	v_add_u32_e32 v19, v24, v19
	v_mul_lo_u32 v25, s8, v1
	v_add_u32_e32 v19, v19, v21
	v_mul_lo_u32 v24, v1, v19
	v_mul_hi_u32 v26, v1, v25
	v_mul_hi_u32 v21, v1, v19
	v_add_co_u32_e32 v24, vcc, v26, v24
	v_addc_co_u32_e32 v21, vcc, 0, v21, vcc
	v_mul_hi_u32 v27, v15, v25
	v_mul_lo_u32 v25, v15, v25
	v_add_co_u32_e32 v24, vcc, v24, v25
	v_mul_hi_u32 v26, v15, v19
	v_addc_co_u32_e32 v21, vcc, v21, v27, vcc
	v_addc_co_u32_e32 v24, vcc, 0, v26, vcc
	v_mul_lo_u32 v19, v15, v19
	v_add_co_u32_e32 v19, vcc, v21, v19
	v_addc_co_u32_e32 v21, vcc, 0, v24, vcc
	v_add_co_u32_e32 v1, vcc, v1, v19
	v_addc_co_u32_e32 v15, vcc, v15, v21, vcc
	v_mul_lo_u32 v19, s8, v15
	v_mul_hi_u32 v21, s8, v1
	v_add_u32_e32 v19, v21, v19
	v_mul_lo_u32 v21, s9, v1
	v_add_u32_e32 v19, v19, v21
	v_mul_lo_u32 v24, s8, v1
	v_mul_hi_u32 v25, v15, v24
	v_mul_lo_u32 v26, v15, v24
	v_mul_lo_u32 v28, v1, v19
	v_mul_hi_u32 v24, v1, v24
	v_mul_hi_u32 v27, v1, v19
	v_add_co_u32_e32 v24, vcc, v24, v28
	v_addc_co_u32_e32 v27, vcc, 0, v27, vcc
	v_add_co_u32_e32 v24, vcc, v24, v26
	v_mul_hi_u32 v21, v15, v19
	v_addc_co_u32_e32 v24, vcc, v27, v25, vcc
	v_addc_co_u32_e32 v21, vcc, 0, v21, vcc
	v_mul_lo_u32 v19, v15, v19
	v_add_co_u32_e32 v19, vcc, v24, v19
	v_addc_co_u32_e32 v21, vcc, 0, v21, vcc
	v_add_co_u32_e32 v1, vcc, v1, v19
	v_addc_co_u32_e32 v15, vcc, v15, v21, vcc
	v_ashrrev_i32_e32 v19, 31, v23
	v_add_co_u32_e32 v21, vcc, v22, v19
	v_addc_co_u32_e32 v22, vcc, v23, v19, vcc
	v_xor_b32_e32 v21, v21, v19
	v_xor_b32_e32 v26, v22, v19
	v_mad_u64_u32 v[22:23], s[8:9], v21, v15, 0
	v_mul_hi_u32 v24, v21, v1
	v_add_co_u32_e32 v27, vcc, v24, v22
	v_addc_co_u32_e32 v28, vcc, 0, v23, vcc
	v_mad_u64_u32 v[24:25], s[8:9], v26, v1, 0
	v_add_co_u32_e32 v1, vcc, v27, v24
	v_mad_u64_u32 v[22:23], s[8:9], v26, v15, 0
	v_addc_co_u32_e32 v1, vcc, v28, v25, vcc
	v_addc_co_u32_e32 v15, vcc, 0, v23, vcc
	v_add_co_u32_e32 v1, vcc, v1, v22
	v_addc_co_u32_e32 v15, vcc, 0, v15, vcc
	v_mul_lo_u32 v24, s51, v1
	v_mul_lo_u32 v15, s50, v15
	v_mad_u64_u32 v[22:23], s[8:9], s50, v1, 0
	v_add3_u32 v15, v23, v15, v24
	v_sub_u32_e32 v23, v26, v15
	v_mov_b32_e32 v24, s51
	v_sub_co_u32_e32 v21, vcc, v21, v22
	v_subb_co_u32_e64 v22, s[8:9], v23, v24, vcc
	v_subrev_co_u32_e64 v23, s[8:9], s50, v21
	v_subbrev_co_u32_e64 v22, s[8:9], 0, v22, s[8:9]
	v_cmp_le_u32_e64 s[8:9], s51, v22
	v_subb_co_u32_e32 v15, vcc, v26, v15, vcc
	v_cndmask_b32_e64 v24, 0, -1, s[8:9]
	v_cmp_le_u32_e64 s[8:9], s50, v23
	v_cmp_le_u32_e32 vcc, s51, v15
	v_cndmask_b32_e64 v23, 0, -1, s[8:9]
	v_cmp_eq_u32_e64 s[8:9], s51, v22
	v_cndmask_b32_e64 v25, 0, -1, vcc
	v_cmp_le_u32_e32 vcc, s50, v21
	v_cndmask_b32_e64 v22, v24, v23, s[8:9]
	v_cndmask_b32_e64 v21, 0, -1, vcc
	v_cmp_eq_u32_e32 vcc, s51, v15
	v_add_co_u32_e64 v23, s[8:9], 2, v1
	v_add_co_u32_e64 v24, s[8:9], 1, v1
	v_cndmask_b32_e32 v15, v25, v21, vcc
	v_cmp_ne_u32_e32 vcc, 0, v22
	v_cndmask_b32_e32 v21, v24, v23, vcc
	v_cmp_ne_u32_e32 vcc, 0, v15
	v_cndmask_b32_e32 v1, v1, v21, vcc
	v_xor_b32_e32 v15, s48, v19
	v_xor_b32_e32 v1, v1, v15
	v_sub_co_u32_e32 v24, vcc, v1, v15
                                        ; implicit-def: $vgpr22_vgpr23
.LBB10_57:                              ;   in Loop: Header=BB10_54 Depth=4
	s_or_saveexec_b64 s[8:9], s[46:47]
	v_cvt_f32_u32_e32 v15, s59
	s_xor_b64 exec, exec, s[8:9]
	s_cbranch_execz .LBB10_59
; %bb.58:                               ;   in Loop: Header=BB10_54 Depth=4
	v_rcp_iflag_f32_e32 v1, v15
	s_sub_i32 s29, 0, s59
	v_mul_f32_e32 v1, 0x4f7ffffe, v1
	v_cvt_u32_f32_e32 v1, v1
	v_mul_lo_u32 v19, s29, v1
	v_mul_hi_u32 v19, v1, v19
	v_add_u32_e32 v1, v1, v19
	v_mul_hi_u32 v1, v22, v1
	v_mul_lo_u32 v19, v1, s59
	v_sub_u32_e32 v19, v22, v19
	v_add_u32_e32 v21, 1, v1
	v_subrev_u32_e32 v22, s59, v19
	v_cmp_le_u32_e32 vcc, s59, v19
	v_cndmask_b32_e32 v19, v19, v22, vcc
	v_cndmask_b32_e32 v1, v1, v21, vcc
	v_add_u32_e32 v21, 1, v1
	v_cmp_le_u32_e32 vcc, s59, v19
	v_cndmask_b32_e32 v24, v1, v21, vcc
.LBB10_59:                              ;   in Loop: Header=BB10_54 Depth=4
	s_or_b64 exec, exec, s[8:9]
	v_or_b32_e32 v1, s58, v3
	v_cmp_ne_u64_e32 vcc, 0, v[0:1]
                                        ; implicit-def: $vgpr26_vgpr27
	s_and_saveexec_b64 s[8:9], vcc
	s_xor_b64 s[46:47], exec, s[8:9]
	s_cbranch_execz .LBB10_61
; %bb.60:                               ;   in Loop: Header=BB10_54 Depth=4
	s_add_u32 s8, s59, s58
	s_mov_b32 s48, s58
	s_mov_b32 s49, s58
	s_addc_u32 s9, s58, s58
	s_xor_b64 s[50:51], s[8:9], s[48:49]
	v_cvt_f32_u32_e32 v1, s50
	v_cvt_f32_u32_e32 v19, s51
	s_sub_u32 s8, 0, s50
	s_subb_u32 s9, 0, s51
	v_mac_f32_e32 v1, 0x4f800000, v19
	v_rcp_f32_e32 v1, v1
	v_mul_f32_e32 v1, 0x5f7ffffc, v1
	v_mul_f32_e32 v19, 0x2f800000, v1
	v_trunc_f32_e32 v19, v19
	v_mac_f32_e32 v1, 0xcf800000, v19
	v_cvt_u32_f32_e32 v19, v19
	v_cvt_u32_f32_e32 v1, v1
	v_mul_lo_u32 v21, s8, v19
	v_mul_hi_u32 v23, s8, v1
	v_mul_lo_u32 v22, s9, v1
	v_add_u32_e32 v21, v23, v21
	v_mul_lo_u32 v25, s8, v1
	v_add_u32_e32 v21, v21, v22
	v_mul_lo_u32 v23, v1, v21
	v_mul_hi_u32 v26, v1, v25
	v_mul_hi_u32 v22, v1, v21
	v_add_co_u32_e32 v23, vcc, v26, v23
	v_addc_co_u32_e32 v22, vcc, 0, v22, vcc
	v_mul_hi_u32 v27, v19, v25
	v_mul_lo_u32 v25, v19, v25
	v_add_co_u32_e32 v23, vcc, v23, v25
	v_mul_hi_u32 v26, v19, v21
	v_addc_co_u32_e32 v22, vcc, v22, v27, vcc
	v_addc_co_u32_e32 v23, vcc, 0, v26, vcc
	v_mul_lo_u32 v21, v19, v21
	v_add_co_u32_e32 v21, vcc, v22, v21
	v_addc_co_u32_e32 v22, vcc, 0, v23, vcc
	v_add_co_u32_e32 v1, vcc, v1, v21
	v_addc_co_u32_e32 v19, vcc, v19, v22, vcc
	v_mul_lo_u32 v21, s8, v19
	v_mul_hi_u32 v22, s8, v1
	v_add_u32_e32 v21, v22, v21
	v_mul_lo_u32 v22, s9, v1
	v_add_u32_e32 v21, v21, v22
	v_mul_lo_u32 v23, s8, v1
	v_mul_hi_u32 v25, v19, v23
	v_mul_lo_u32 v26, v19, v23
	v_mul_lo_u32 v28, v1, v21
	v_mul_hi_u32 v23, v1, v23
	v_mul_hi_u32 v27, v1, v21
	v_add_co_u32_e32 v23, vcc, v23, v28
	v_addc_co_u32_e32 v27, vcc, 0, v27, vcc
	v_add_co_u32_e32 v23, vcc, v23, v26
	v_mul_hi_u32 v22, v19, v21
	v_addc_co_u32_e32 v23, vcc, v27, v25, vcc
	v_addc_co_u32_e32 v22, vcc, 0, v22, vcc
	v_mul_lo_u32 v21, v19, v21
	v_add_co_u32_e32 v21, vcc, v23, v21
	v_addc_co_u32_e32 v22, vcc, 0, v22, vcc
	v_add_co_u32_e32 v1, vcc, v1, v21
	v_addc_co_u32_e32 v19, vcc, v19, v22, vcc
	v_ashrrev_i32_e32 v21, 31, v3
	v_add_co_u32_e32 v22, vcc, v20, v21
	v_addc_co_u32_e32 v23, vcc, v3, v21, vcc
	v_xor_b32_e32 v28, v22, v21
	v_xor_b32_e32 v25, v23, v21
	v_mad_u64_u32 v[22:23], s[8:9], v28, v19, 0
	v_mul_hi_u32 v26, v28, v1
	v_add_co_u32_e32 v29, vcc, v26, v22
	v_addc_co_u32_e32 v30, vcc, 0, v23, vcc
	v_mad_u64_u32 v[26:27], s[8:9], v25, v1, 0
	v_add_co_u32_e32 v1, vcc, v29, v26
	v_mad_u64_u32 v[22:23], s[8:9], v25, v19, 0
	v_addc_co_u32_e32 v1, vcc, v30, v27, vcc
	v_addc_co_u32_e32 v19, vcc, 0, v23, vcc
	v_add_co_u32_e32 v1, vcc, v1, v22
	v_addc_co_u32_e32 v19, vcc, 0, v19, vcc
	v_mul_lo_u32 v26, s51, v1
	v_mul_lo_u32 v27, s50, v19
	v_mad_u64_u32 v[22:23], s[8:9], s50, v1, 0
	v_add3_u32 v23, v23, v27, v26
	v_sub_u32_e32 v26, v25, v23
	v_mov_b32_e32 v27, s51
	v_sub_co_u32_e32 v22, vcc, v28, v22
	v_subb_co_u32_e64 v26, s[8:9], v26, v27, vcc
	v_subrev_co_u32_e64 v27, s[8:9], s50, v22
	v_subbrev_co_u32_e64 v26, s[8:9], 0, v26, s[8:9]
	v_cmp_le_u32_e64 s[8:9], s51, v26
	v_cndmask_b32_e64 v28, 0, -1, s[8:9]
	v_cmp_le_u32_e64 s[8:9], s50, v27
	v_cndmask_b32_e64 v27, 0, -1, s[8:9]
	v_cmp_eq_u32_e64 s[8:9], s51, v26
	v_cndmask_b32_e64 v26, v28, v27, s[8:9]
	v_add_co_u32_e64 v27, s[8:9], 2, v1
	v_subb_co_u32_e32 v23, vcc, v25, v23, vcc
	v_addc_co_u32_e64 v28, s[8:9], 0, v19, s[8:9]
	v_cmp_le_u32_e32 vcc, s51, v23
	v_add_co_u32_e64 v29, s[8:9], 1, v1
	v_cndmask_b32_e64 v25, 0, -1, vcc
	v_cmp_le_u32_e32 vcc, s50, v22
	v_addc_co_u32_e64 v30, s[8:9], 0, v19, s[8:9]
	v_cndmask_b32_e64 v22, 0, -1, vcc
	v_cmp_eq_u32_e32 vcc, s51, v23
	v_cmp_ne_u32_e64 s[8:9], 0, v26
	v_cndmask_b32_e32 v22, v25, v22, vcc
	v_cmp_ne_u32_e32 vcc, 0, v22
	v_cndmask_b32_e64 v22, v29, v27, s[8:9]
	v_cndmask_b32_e64 v26, v30, v28, s[8:9]
	v_cndmask_b32_e32 v1, v1, v22, vcc
	v_xor_b32_e32 v22, s49, v21
	v_xor_b32_e32 v21, s48, v21
	v_cndmask_b32_e32 v19, v19, v26, vcc
	v_xor_b32_e32 v1, v1, v21
	v_xor_b32_e32 v19, v19, v22
	v_sub_co_u32_e32 v26, vcc, v1, v21
	v_subb_co_u32_e32 v27, vcc, v19, v22, vcc
.LBB10_61:                              ;   in Loop: Header=BB10_54 Depth=4
	s_andn2_saveexec_b64 s[8:9], s[46:47]
	s_cbranch_execz .LBB10_63
; %bb.62:                               ;   in Loop: Header=BB10_54 Depth=4
	v_rcp_iflag_f32_e32 v1, v15
	s_sub_i32 s29, 0, s59
	v_mov_b32_e32 v27, v0
	v_mul_f32_e32 v1, 0x4f7ffffe, v1
	v_cvt_u32_f32_e32 v1, v1
	v_mul_lo_u32 v19, s29, v1
	v_mul_hi_u32 v19, v1, v19
	v_add_u32_e32 v1, v1, v19
	v_mul_hi_u32 v1, v20, v1
	v_mul_lo_u32 v19, v1, s59
	v_sub_u32_e32 v19, v20, v19
	v_add_u32_e32 v21, 1, v1
	v_subrev_u32_e32 v22, s59, v19
	v_cmp_le_u32_e32 vcc, s59, v19
	v_cndmask_b32_e32 v19, v19, v22, vcc
	v_cndmask_b32_e32 v1, v1, v21, vcc
	v_add_u32_e32 v21, 1, v1
	v_cmp_le_u32_e32 vcc, s59, v19
	v_cndmask_b32_e32 v26, v1, v21, vcc
.LBB10_63:                              ;   in Loop: Header=BB10_54 Depth=4
	s_or_b64 exec, exec, s[8:9]
	v_mul_lo_u32 v1, v27, s59
	v_mul_lo_u32 v19, v26, s58
	v_mad_u64_u32 v[22:23], s[8:9], v26, s59, 0
	v_add3_u32 v1, v23, v19, v1
	v_sub_co_u32_e32 v19, vcc, v20, v22
	v_subb_co_u32_e32 v1, vcc, v3, v1, vcc
	v_mul_lo_u32 v1, v1, s21
	v_mul_lo_u32 v3, v19, s12
	v_mad_u64_u32 v[22:23], s[8:9], v19, s21, 0
	v_add3_u32 v23, v23, v3, v1
	v_or_b32_e32 v1, s58, v23
	v_cmp_ne_u64_e32 vcc, 0, v[0:1]
                                        ; implicit-def: $vgpr28_vgpr29
	s_and_saveexec_b64 s[8:9], vcc
	s_xor_b64 s[46:47], exec, s[8:9]
	s_cbranch_execz .LBB10_65
; %bb.64:                               ;   in Loop: Header=BB10_54 Depth=4
	s_add_u32 s8, s59, s58
	s_mov_b32 s48, s58
	s_mov_b32 s49, s58
	s_addc_u32 s9, s58, s58
	s_xor_b64 s[50:51], s[8:9], s[48:49]
	v_cvt_f32_u32_e32 v1, s50
	v_cvt_f32_u32_e32 v3, s51
	s_sub_u32 s8, 0, s50
	s_subb_u32 s9, 0, s51
	v_mac_f32_e32 v1, 0x4f800000, v3
	v_rcp_f32_e32 v1, v1
	v_mul_f32_e32 v1, 0x5f7ffffc, v1
	v_mul_f32_e32 v3, 0x2f800000, v1
	v_trunc_f32_e32 v3, v3
	v_mac_f32_e32 v1, 0xcf800000, v3
	v_cvt_u32_f32_e32 v3, v3
	v_cvt_u32_f32_e32 v1, v1
	v_mul_lo_u32 v15, s8, v3
	v_mul_hi_u32 v21, s8, v1
	v_mul_lo_u32 v19, s9, v1
	v_add_u32_e32 v15, v21, v15
	v_mul_lo_u32 v25, s8, v1
	v_add_u32_e32 v15, v15, v19
	v_mul_lo_u32 v21, v1, v15
	v_mul_hi_u32 v27, v1, v25
	v_mul_hi_u32 v19, v1, v15
	v_add_co_u32_e32 v21, vcc, v27, v21
	v_addc_co_u32_e32 v19, vcc, 0, v19, vcc
	v_mul_hi_u32 v28, v3, v25
	v_mul_lo_u32 v25, v3, v25
	v_add_co_u32_e32 v21, vcc, v21, v25
	v_mul_hi_u32 v27, v3, v15
	v_addc_co_u32_e32 v19, vcc, v19, v28, vcc
	v_addc_co_u32_e32 v21, vcc, 0, v27, vcc
	v_mul_lo_u32 v15, v3, v15
	v_add_co_u32_e32 v15, vcc, v19, v15
	v_addc_co_u32_e32 v19, vcc, 0, v21, vcc
	v_add_co_u32_e32 v1, vcc, v1, v15
	v_addc_co_u32_e32 v3, vcc, v3, v19, vcc
	v_mul_lo_u32 v15, s8, v3
	v_mul_hi_u32 v19, s8, v1
	v_add_u32_e32 v15, v19, v15
	v_mul_lo_u32 v19, s9, v1
	v_add_u32_e32 v15, v15, v19
	v_mul_lo_u32 v21, s8, v1
	v_mul_hi_u32 v25, v3, v21
	v_mul_lo_u32 v27, v3, v21
	v_mul_lo_u32 v29, v1, v15
	v_mul_hi_u32 v21, v1, v21
	v_mul_hi_u32 v28, v1, v15
	v_add_co_u32_e32 v21, vcc, v21, v29
	v_addc_co_u32_e32 v28, vcc, 0, v28, vcc
	v_add_co_u32_e32 v21, vcc, v21, v27
	v_mul_hi_u32 v19, v3, v15
	v_addc_co_u32_e32 v21, vcc, v28, v25, vcc
	v_addc_co_u32_e32 v19, vcc, 0, v19, vcc
	v_mul_lo_u32 v15, v3, v15
	v_add_co_u32_e32 v15, vcc, v21, v15
	v_addc_co_u32_e32 v19, vcc, 0, v19, vcc
	v_add_co_u32_e32 v1, vcc, v1, v15
	v_addc_co_u32_e32 v3, vcc, v3, v19, vcc
	v_ashrrev_i32_e32 v15, 31, v23
	v_add_co_u32_e32 v19, vcc, v22, v15
	v_xor_b32_e32 v19, v19, v15
	v_addc_co_u32_e32 v21, vcc, v23, v15, vcc
	v_mad_u64_u32 v[22:23], s[8:9], v19, v3, 0
	v_mul_hi_u32 v25, v19, v1
	v_xor_b32_e32 v21, v21, v15
	v_add_co_u32_e32 v25, vcc, v25, v22
	v_addc_co_u32_e32 v27, vcc, 0, v23, vcc
	v_mad_u64_u32 v[28:29], s[8:9], v21, v1, 0
	v_add_co_u32_e32 v1, vcc, v25, v28
	v_mad_u64_u32 v[22:23], s[8:9], v21, v3, 0
	v_addc_co_u32_e32 v1, vcc, v27, v29, vcc
	v_addc_co_u32_e32 v3, vcc, 0, v23, vcc
	v_add_co_u32_e32 v1, vcc, v1, v22
	v_addc_co_u32_e32 v3, vcc, 0, v3, vcc
	v_mul_lo_u32 v25, s51, v1
	v_mul_lo_u32 v3, s50, v3
	v_mad_u64_u32 v[22:23], s[8:9], s50, v1, 0
	v_add3_u32 v3, v23, v3, v25
	v_sub_u32_e32 v23, v21, v3
	v_mov_b32_e32 v25, s51
	v_sub_co_u32_e32 v19, vcc, v19, v22
	v_subb_co_u32_e64 v22, s[8:9], v23, v25, vcc
	v_subrev_co_u32_e64 v23, s[8:9], s50, v19
	v_subbrev_co_u32_e64 v22, s[8:9], 0, v22, s[8:9]
	v_cmp_le_u32_e64 s[8:9], s51, v22
	v_subb_co_u32_e32 v3, vcc, v21, v3, vcc
	v_cndmask_b32_e64 v25, 0, -1, s[8:9]
	v_cmp_le_u32_e64 s[8:9], s50, v23
	v_cmp_le_u32_e32 vcc, s51, v3
	v_cndmask_b32_e64 v23, 0, -1, s[8:9]
	v_cmp_eq_u32_e64 s[8:9], s51, v22
	v_cndmask_b32_e64 v21, 0, -1, vcc
	v_cmp_le_u32_e32 vcc, s50, v19
	v_cndmask_b32_e64 v22, v25, v23, s[8:9]
	v_cndmask_b32_e64 v19, 0, -1, vcc
	v_cmp_eq_u32_e32 vcc, s51, v3
	v_add_co_u32_e64 v23, s[8:9], 2, v1
	v_add_co_u32_e64 v25, s[8:9], 1, v1
	v_cndmask_b32_e32 v3, v21, v19, vcc
	v_cmp_ne_u32_e32 vcc, 0, v22
	v_cndmask_b32_e32 v19, v25, v23, vcc
	v_cmp_ne_u32_e32 vcc, 0, v3
	v_cndmask_b32_e32 v1, v1, v19, vcc
	v_xor_b32_e32 v3, s48, v15
	v_xor_b32_e32 v1, v1, v3
	v_sub_co_u32_e32 v28, vcc, v1, v3
                                        ; implicit-def: $vgpr15
                                        ; implicit-def: $vgpr22_vgpr23
.LBB10_65:                              ;   in Loop: Header=BB10_54 Depth=4
	s_andn2_saveexec_b64 s[8:9], s[46:47]
	s_cbranch_execz .LBB10_67
; %bb.66:                               ;   in Loop: Header=BB10_54 Depth=4
	v_rcp_iflag_f32_e32 v1, v15
	s_sub_i32 s29, 0, s59
	v_mul_f32_e32 v1, 0x4f7ffffe, v1
	v_cvt_u32_f32_e32 v1, v1
	v_mul_lo_u32 v3, s29, v1
	v_mul_hi_u32 v3, v1, v3
	v_add_u32_e32 v1, v1, v3
	v_mul_hi_u32 v1, v22, v1
	v_mul_lo_u32 v3, v1, s59
	v_sub_u32_e32 v3, v22, v3
	v_add_u32_e32 v15, 1, v1
	v_subrev_u32_e32 v19, s59, v3
	v_cmp_le_u32_e32 vcc, s59, v3
	v_cndmask_b32_e32 v3, v3, v19, vcc
	v_cndmask_b32_e32 v1, v1, v15, vcc
	v_add_u32_e32 v15, 1, v1
	v_cmp_le_u32_e32 vcc, s59, v3
	v_cndmask_b32_e32 v28, v1, v15, vcc
.LBB10_67:                              ;   in Loop: Header=BB10_54 Depth=4
	s_or_b64 exec, exec, s[8:9]
	global_load_ushort v3, v[10:11], off
	v_ashrrev_i32_e32 v19, 31, v18
	v_lshlrev_b64 v[22:23], 1, v[18:19]
	v_mov_b32_e32 v1, s37
	v_add_co_u32_e32 v22, vcc, s36, v22
	v_mad_u64_u32 v[26:27], s[8:9], v26, s21, v[28:29]
	v_addc_co_u32_e32 v23, vcc, v1, v23, vcc
	v_sub_u32_e32 v1, v24, v26
	v_mul_lo_u32 v1, v9, v1
	v_add_u32_e32 v24, v1, v9
	s_mov_b64 s[46:47], 0
	v_pk_mov_b32 v[26:27], v[16:17], v[16:17] op_sel:[0,1]
	v_pk_mov_b32 v[28:29], v[12:13], v[12:13] op_sel:[0,1]
	s_branch .LBB10_69
.LBB10_68:                              ;   in Loop: Header=BB10_69 Depth=5
	s_or_b64 exec, exec, s[8:9]
	global_load_ushort v1, v[22:23], off
	v_mad_u64_u32 v[32:33], s[8:9], v32, s54, v[36:37]
	v_sub_u32_e32 v15, v30, v32
	v_mad_u64_u32 v[30:31], s[8:9], v24, v15, v[24:25]
	v_cvt_f32_i32_e32 v15, v30
	v_add_co_u32_e32 v28, vcc, 1, v28
	v_addc_co_u32_e32 v29, vcc, 0, v29, vcc
	v_add_co_u32_e32 v22, vcc, 2, v22
	v_addc_co_u32_e32 v23, vcc, 0, v23, vcc
	s_waitcnt vmcnt(0)
	v_cvt_f32_f16_e32 v1, v1
	v_div_scale_f32 v19, s[8:9], v15, v15, v1
	v_rcp_f32_e32 v21, v19
	v_div_scale_f32 v25, vcc, v1, v15, v1
	v_fma_f32 v30, -v19, v21, 1.0
	v_fmac_f32_e32 v21, v30, v21
	v_mul_f32_e32 v30, v25, v21
	v_fma_f32 v31, -v19, v30, v25
	v_fmac_f32_e32 v30, v31, v21
	v_fma_f32 v19, -v19, v30, v25
	v_div_fmas_f32 v19, v19, v21, v30
	v_div_fixup_f32 v1, v19, v15, v1
	v_cvt_f16_f32_e32 v1, v1
	v_cmp_ge_i32_e32 vcc, v28, v7
	v_mov_b32_e32 v15, s33
	s_or_b64 s[46:47], vcc, s[46:47]
	v_add_co_u32_e32 v26, vcc, s54, v26
	v_add_f16_e32 v3, v3, v1
	v_addc_co_u32_e32 v27, vcc, v27, v15, vcc
	global_store_short v[10:11], v3, off
	s_andn2_b64 exec, exec, s[46:47]
	s_cbranch_execz .LBB10_53
.LBB10_69:                              ;   Parent Loop BB10_12 Depth=1
                                        ;     Parent Loop BB10_27 Depth=2
                                        ;       Parent Loop BB10_42 Depth=3
                                        ;         Parent Loop BB10_54 Depth=4
                                        ; =>        This Inner Loop Header: Depth=5
	v_or_b32_e32 v1, s60, v27
	v_cmp_ne_u64_e32 vcc, 0, v[0:1]
                                        ; implicit-def: $vgpr30_vgpr31
	s_and_saveexec_b64 s[8:9], vcc
	s_xor_b64 s[48:49], exec, s[8:9]
	s_cbranch_execz .LBB10_71
; %bb.70:                               ;   in Loop: Header=BB10_69 Depth=5
	s_add_u32 s8, s61, s60
	s_mov_b32 s50, s60
	s_mov_b32 s51, s60
	s_addc_u32 s9, s60, s60
	s_xor_b64 s[52:53], s[8:9], s[50:51]
	v_cvt_f32_u32_e32 v1, s52
	v_cvt_f32_u32_e32 v15, s53
	s_sub_u32 s8, 0, s52
	s_subb_u32 s9, 0, s53
	v_mac_f32_e32 v1, 0x4f800000, v15
	v_rcp_f32_e32 v1, v1
	v_mul_f32_e32 v1, 0x5f7ffffc, v1
	v_mul_f32_e32 v15, 0x2f800000, v1
	v_trunc_f32_e32 v15, v15
	v_mac_f32_e32 v1, 0xcf800000, v15
	v_cvt_u32_f32_e32 v15, v15
	v_cvt_u32_f32_e32 v1, v1
	v_mul_lo_u32 v19, s8, v15
	v_mul_hi_u32 v25, s8, v1
	v_mul_lo_u32 v21, s9, v1
	v_add_u32_e32 v19, v25, v19
	v_mul_lo_u32 v30, s8, v1
	v_add_u32_e32 v19, v19, v21
	v_mul_lo_u32 v25, v1, v19
	v_mul_hi_u32 v31, v1, v30
	v_mul_hi_u32 v21, v1, v19
	v_add_co_u32_e32 v25, vcc, v31, v25
	v_addc_co_u32_e32 v21, vcc, 0, v21, vcc
	v_mul_hi_u32 v32, v15, v30
	v_mul_lo_u32 v30, v15, v30
	v_add_co_u32_e32 v25, vcc, v25, v30
	v_mul_hi_u32 v31, v15, v19
	v_addc_co_u32_e32 v21, vcc, v21, v32, vcc
	v_addc_co_u32_e32 v25, vcc, 0, v31, vcc
	v_mul_lo_u32 v19, v15, v19
	v_add_co_u32_e32 v19, vcc, v21, v19
	v_addc_co_u32_e32 v21, vcc, 0, v25, vcc
	v_add_co_u32_e32 v1, vcc, v1, v19
	v_addc_co_u32_e32 v15, vcc, v15, v21, vcc
	v_mul_lo_u32 v19, s8, v15
	v_mul_hi_u32 v21, s8, v1
	v_add_u32_e32 v19, v21, v19
	v_mul_lo_u32 v21, s9, v1
	v_add_u32_e32 v19, v19, v21
	v_mul_lo_u32 v25, s8, v1
	v_mul_hi_u32 v30, v15, v25
	v_mul_lo_u32 v31, v15, v25
	v_mul_lo_u32 v33, v1, v19
	v_mul_hi_u32 v25, v1, v25
	v_mul_hi_u32 v32, v1, v19
	v_add_co_u32_e32 v25, vcc, v25, v33
	v_addc_co_u32_e32 v32, vcc, 0, v32, vcc
	v_add_co_u32_e32 v25, vcc, v25, v31
	v_mul_hi_u32 v21, v15, v19
	v_addc_co_u32_e32 v25, vcc, v32, v30, vcc
	v_addc_co_u32_e32 v21, vcc, 0, v21, vcc
	v_mul_lo_u32 v19, v15, v19
	v_add_co_u32_e32 v19, vcc, v25, v19
	v_addc_co_u32_e32 v21, vcc, 0, v21, vcc
	v_add_co_u32_e32 v1, vcc, v1, v19
	v_addc_co_u32_e32 v15, vcc, v15, v21, vcc
	v_ashrrev_i32_e32 v19, 31, v27
	v_add_co_u32_e32 v21, vcc, v26, v19
	v_xor_b32_e32 v21, v21, v19
	v_addc_co_u32_e32 v25, vcc, v27, v19, vcc
	v_mad_u64_u32 v[30:31], s[8:9], v21, v15, 0
	v_mul_hi_u32 v32, v21, v1
	v_xor_b32_e32 v25, v25, v19
	v_add_co_u32_e32 v34, vcc, v32, v30
	v_addc_co_u32_e32 v35, vcc, 0, v31, vcc
	v_mad_u64_u32 v[32:33], s[8:9], v25, v1, 0
	v_add_co_u32_e32 v1, vcc, v34, v32
	v_mad_u64_u32 v[30:31], s[8:9], v25, v15, 0
	v_addc_co_u32_e32 v1, vcc, v35, v33, vcc
	v_addc_co_u32_e32 v15, vcc, 0, v31, vcc
	v_add_co_u32_e32 v1, vcc, v1, v30
	v_addc_co_u32_e32 v15, vcc, 0, v15, vcc
	v_mul_lo_u32 v32, s53, v1
	v_mul_lo_u32 v15, s52, v15
	v_mad_u64_u32 v[30:31], s[8:9], s52, v1, 0
	v_add3_u32 v15, v31, v15, v32
	v_sub_u32_e32 v31, v25, v15
	v_mov_b32_e32 v32, s53
	v_sub_co_u32_e32 v21, vcc, v21, v30
	v_subb_co_u32_e64 v30, s[8:9], v31, v32, vcc
	v_subrev_co_u32_e64 v31, s[8:9], s52, v21
	v_subbrev_co_u32_e64 v30, s[8:9], 0, v30, s[8:9]
	v_cmp_le_u32_e64 s[8:9], s53, v30
	v_subb_co_u32_e32 v15, vcc, v25, v15, vcc
	v_cndmask_b32_e64 v32, 0, -1, s[8:9]
	v_cmp_le_u32_e64 s[8:9], s52, v31
	v_cmp_le_u32_e32 vcc, s53, v15
	v_cndmask_b32_e64 v31, 0, -1, s[8:9]
	v_cmp_eq_u32_e64 s[8:9], s53, v30
	v_cndmask_b32_e64 v25, 0, -1, vcc
	v_cmp_le_u32_e32 vcc, s52, v21
	v_cndmask_b32_e64 v30, v32, v31, s[8:9]
	v_cndmask_b32_e64 v21, 0, -1, vcc
	v_cmp_eq_u32_e32 vcc, s53, v15
	v_add_co_u32_e64 v31, s[8:9], 2, v1
	v_add_co_u32_e64 v32, s[8:9], 1, v1
	v_cndmask_b32_e32 v15, v25, v21, vcc
	v_cmp_ne_u32_e32 vcc, 0, v30
	v_cndmask_b32_e32 v21, v32, v31, vcc
	v_cmp_ne_u32_e32 vcc, 0, v15
	v_cndmask_b32_e32 v1, v1, v21, vcc
	v_xor_b32_e32 v15, s50, v19
	v_xor_b32_e32 v1, v1, v15
	v_sub_co_u32_e32 v30, vcc, v1, v15
.LBB10_71:                              ;   in Loop: Header=BB10_69 Depth=5
	s_or_saveexec_b64 s[8:9], s[48:49]
	v_cvt_f32_u32_e32 v15, s61
	s_xor_b64 exec, exec, s[8:9]
	s_cbranch_execz .LBB10_73
; %bb.72:                               ;   in Loop: Header=BB10_69 Depth=5
	v_rcp_iflag_f32_e32 v1, v15
	s_sub_i32 s29, 0, s61
	v_mul_f32_e32 v1, 0x4f7ffffe, v1
	v_cvt_u32_f32_e32 v1, v1
	v_mul_lo_u32 v19, s29, v1
	v_mul_hi_u32 v19, v1, v19
	v_add_u32_e32 v1, v1, v19
	v_mul_hi_u32 v1, v26, v1
	v_mul_lo_u32 v19, v1, s61
	v_sub_u32_e32 v19, v26, v19
	v_add_u32_e32 v21, 1, v1
	v_subrev_u32_e32 v25, s61, v19
	v_cmp_le_u32_e32 vcc, s61, v19
	v_cndmask_b32_e32 v19, v19, v25, vcc
	v_cndmask_b32_e32 v1, v1, v21, vcc
	v_add_u32_e32 v21, 1, v1
	v_cmp_le_u32_e32 vcc, s61, v19
	v_cndmask_b32_e32 v30, v1, v21, vcc
.LBB10_73:                              ;   in Loop: Header=BB10_69 Depth=5
	s_or_b64 exec, exec, s[8:9]
	v_or_b32_e32 v1, s60, v29
	v_cmp_ne_u64_e32 vcc, 0, v[0:1]
                                        ; implicit-def: $vgpr32_vgpr33
	s_and_saveexec_b64 s[8:9], vcc
	s_xor_b64 s[48:49], exec, s[8:9]
	s_cbranch_execz .LBB10_75
; %bb.74:                               ;   in Loop: Header=BB10_69 Depth=5
	s_add_u32 s8, s61, s60
	s_mov_b32 s50, s60
	s_mov_b32 s51, s60
	s_addc_u32 s9, s60, s60
	s_xor_b64 s[52:53], s[8:9], s[50:51]
	v_cvt_f32_u32_e32 v1, s52
	v_cvt_f32_u32_e32 v19, s53
	s_sub_u32 s8, 0, s52
	s_subb_u32 s9, 0, s53
	v_mac_f32_e32 v1, 0x4f800000, v19
	v_rcp_f32_e32 v1, v1
	v_mul_f32_e32 v1, 0x5f7ffffc, v1
	v_mul_f32_e32 v19, 0x2f800000, v1
	v_trunc_f32_e32 v19, v19
	v_mac_f32_e32 v1, 0xcf800000, v19
	v_cvt_u32_f32_e32 v19, v19
	v_cvt_u32_f32_e32 v1, v1
	v_mul_lo_u32 v21, s8, v19
	v_mul_hi_u32 v31, s8, v1
	v_mul_lo_u32 v25, s9, v1
	v_add_u32_e32 v21, v31, v21
	v_mul_lo_u32 v32, s8, v1
	v_add_u32_e32 v21, v21, v25
	v_mul_lo_u32 v31, v1, v21
	v_mul_hi_u32 v33, v1, v32
	v_mul_hi_u32 v25, v1, v21
	v_add_co_u32_e32 v31, vcc, v33, v31
	v_addc_co_u32_e32 v25, vcc, 0, v25, vcc
	v_mul_hi_u32 v34, v19, v32
	v_mul_lo_u32 v32, v19, v32
	v_add_co_u32_e32 v31, vcc, v31, v32
	v_mul_hi_u32 v33, v19, v21
	v_addc_co_u32_e32 v25, vcc, v25, v34, vcc
	v_addc_co_u32_e32 v31, vcc, 0, v33, vcc
	v_mul_lo_u32 v21, v19, v21
	v_add_co_u32_e32 v21, vcc, v25, v21
	v_addc_co_u32_e32 v25, vcc, 0, v31, vcc
	v_add_co_u32_e32 v1, vcc, v1, v21
	v_addc_co_u32_e32 v19, vcc, v19, v25, vcc
	v_mul_lo_u32 v21, s8, v19
	v_mul_hi_u32 v25, s8, v1
	v_add_u32_e32 v21, v25, v21
	v_mul_lo_u32 v25, s9, v1
	v_add_u32_e32 v21, v21, v25
	v_mul_lo_u32 v31, s8, v1
	v_mul_hi_u32 v32, v19, v31
	v_mul_lo_u32 v33, v19, v31
	v_mul_lo_u32 v35, v1, v21
	v_mul_hi_u32 v31, v1, v31
	v_mul_hi_u32 v34, v1, v21
	v_add_co_u32_e32 v31, vcc, v31, v35
	v_addc_co_u32_e32 v34, vcc, 0, v34, vcc
	v_add_co_u32_e32 v31, vcc, v31, v33
	v_mul_hi_u32 v25, v19, v21
	v_addc_co_u32_e32 v31, vcc, v34, v32, vcc
	v_addc_co_u32_e32 v25, vcc, 0, v25, vcc
	v_mul_lo_u32 v21, v19, v21
	v_add_co_u32_e32 v21, vcc, v31, v21
	v_addc_co_u32_e32 v25, vcc, 0, v25, vcc
	v_add_co_u32_e32 v1, vcc, v1, v21
	v_addc_co_u32_e32 v19, vcc, v19, v25, vcc
	v_ashrrev_i32_e32 v21, 31, v29
	v_add_co_u32_e32 v25, vcc, v28, v21
	v_xor_b32_e32 v25, v25, v21
	v_addc_co_u32_e32 v31, vcc, v29, v21, vcc
	v_mad_u64_u32 v[32:33], s[8:9], v25, v19, 0
	v_mul_hi_u32 v34, v25, v1
	v_xor_b32_e32 v31, v31, v21
	v_add_co_u32_e32 v36, vcc, v34, v32
	v_addc_co_u32_e32 v37, vcc, 0, v33, vcc
	v_mad_u64_u32 v[34:35], s[8:9], v31, v1, 0
	v_add_co_u32_e32 v1, vcc, v36, v34
	v_mad_u64_u32 v[32:33], s[8:9], v31, v19, 0
	v_addc_co_u32_e32 v1, vcc, v37, v35, vcc
	v_addc_co_u32_e32 v19, vcc, 0, v33, vcc
	v_add_co_u32_e32 v1, vcc, v1, v32
	v_addc_co_u32_e32 v19, vcc, 0, v19, vcc
	v_mul_lo_u32 v34, s53, v1
	v_mul_lo_u32 v35, s52, v19
	v_mad_u64_u32 v[32:33], s[8:9], s52, v1, 0
	v_add3_u32 v33, v33, v35, v34
	v_sub_u32_e32 v34, v31, v33
	v_mov_b32_e32 v35, s53
	v_sub_co_u32_e32 v25, vcc, v25, v32
	v_subb_co_u32_e64 v32, s[8:9], v34, v35, vcc
	v_subrev_co_u32_e64 v34, s[8:9], s52, v25
	v_subbrev_co_u32_e64 v32, s[8:9], 0, v32, s[8:9]
	v_cmp_le_u32_e64 s[8:9], s53, v32
	v_cndmask_b32_e64 v35, 0, -1, s[8:9]
	v_cmp_le_u32_e64 s[8:9], s52, v34
	v_cndmask_b32_e64 v34, 0, -1, s[8:9]
	v_cmp_eq_u32_e64 s[8:9], s53, v32
	v_cndmask_b32_e64 v32, v35, v34, s[8:9]
	v_add_co_u32_e64 v34, s[8:9], 2, v1
	v_subb_co_u32_e32 v31, vcc, v31, v33, vcc
	v_addc_co_u32_e64 v35, s[8:9], 0, v19, s[8:9]
	v_cmp_le_u32_e32 vcc, s53, v31
	v_add_co_u32_e64 v36, s[8:9], 1, v1
	v_cndmask_b32_e64 v33, 0, -1, vcc
	v_cmp_le_u32_e32 vcc, s52, v25
	v_addc_co_u32_e64 v37, s[8:9], 0, v19, s[8:9]
	v_cndmask_b32_e64 v25, 0, -1, vcc
	v_cmp_eq_u32_e32 vcc, s53, v31
	v_cmp_ne_u32_e64 s[8:9], 0, v32
	v_cndmask_b32_e32 v25, v33, v25, vcc
	v_cmp_ne_u32_e32 vcc, 0, v25
	v_cndmask_b32_e64 v25, v36, v34, s[8:9]
	v_cndmask_b32_e64 v32, v37, v35, s[8:9]
	v_cndmask_b32_e32 v1, v1, v25, vcc
	v_xor_b32_e32 v25, s51, v21
	v_xor_b32_e32 v21, s50, v21
	v_cndmask_b32_e32 v19, v19, v32, vcc
	v_xor_b32_e32 v1, v1, v21
	v_xor_b32_e32 v19, v19, v25
	v_sub_co_u32_e32 v32, vcc, v1, v21
	v_subb_co_u32_e32 v33, vcc, v19, v25, vcc
.LBB10_75:                              ;   in Loop: Header=BB10_69 Depth=5
	s_andn2_saveexec_b64 s[8:9], s[48:49]
	s_cbranch_execz .LBB10_77
; %bb.76:                               ;   in Loop: Header=BB10_69 Depth=5
	v_rcp_iflag_f32_e32 v1, v15
	s_sub_i32 s29, 0, s61
	v_mov_b32_e32 v33, v0
	v_mul_f32_e32 v1, 0x4f7ffffe, v1
	v_cvt_u32_f32_e32 v1, v1
	v_mul_lo_u32 v19, s29, v1
	v_mul_hi_u32 v19, v1, v19
	v_add_u32_e32 v1, v1, v19
	v_mul_hi_u32 v1, v28, v1
	v_mul_lo_u32 v19, v1, s61
	v_sub_u32_e32 v19, v28, v19
	v_add_u32_e32 v21, 1, v1
	v_subrev_u32_e32 v25, s61, v19
	v_cmp_le_u32_e32 vcc, s61, v19
	v_cndmask_b32_e32 v19, v19, v25, vcc
	v_cndmask_b32_e32 v1, v1, v21, vcc
	v_add_u32_e32 v21, 1, v1
	v_cmp_le_u32_e32 vcc, s61, v19
	v_cndmask_b32_e32 v32, v1, v21, vcc
.LBB10_77:                              ;   in Loop: Header=BB10_69 Depth=5
	s_or_b64 exec, exec, s[8:9]
	v_mul_lo_u32 v1, v33, s61
	v_mul_lo_u32 v19, v32, s60
	v_mad_u64_u32 v[34:35], s[8:9], v32, s61, 0
	v_add3_u32 v1, v35, v19, v1
	v_sub_co_u32_e32 v19, vcc, v28, v34
	v_subb_co_u32_e32 v1, vcc, v29, v1, vcc
	v_mul_lo_u32 v1, v1, s54
	v_mul_lo_u32 v21, v19, s33
	v_mad_u64_u32 v[34:35], s[8:9], v19, s54, 0
	v_add3_u32 v35, v35, v21, v1
	v_or_b32_e32 v1, s60, v35
	v_cmp_ne_u64_e32 vcc, 0, v[0:1]
                                        ; implicit-def: $vgpr36_vgpr37
	s_and_saveexec_b64 s[8:9], vcc
	s_xor_b64 s[48:49], exec, s[8:9]
	s_cbranch_execz .LBB10_79
; %bb.78:                               ;   in Loop: Header=BB10_69 Depth=5
	s_add_u32 s8, s61, s60
	s_mov_b32 s50, s60
	s_mov_b32 s51, s60
	s_addc_u32 s9, s60, s60
	s_xor_b64 s[52:53], s[8:9], s[50:51]
	v_cvt_f32_u32_e32 v1, s52
	v_cvt_f32_u32_e32 v15, s53
	s_sub_u32 s8, 0, s52
	s_subb_u32 s9, 0, s53
	v_mac_f32_e32 v1, 0x4f800000, v15
	v_rcp_f32_e32 v1, v1
	v_mul_f32_e32 v1, 0x5f7ffffc, v1
	v_mul_f32_e32 v15, 0x2f800000, v1
	v_trunc_f32_e32 v15, v15
	v_mac_f32_e32 v1, 0xcf800000, v15
	v_cvt_u32_f32_e32 v15, v15
	v_cvt_u32_f32_e32 v1, v1
	v_mul_lo_u32 v19, s8, v15
	v_mul_hi_u32 v25, s8, v1
	v_mul_lo_u32 v21, s9, v1
	v_add_u32_e32 v19, v25, v19
	v_mul_lo_u32 v31, s8, v1
	v_add_u32_e32 v19, v19, v21
	v_mul_lo_u32 v25, v1, v19
	v_mul_hi_u32 v33, v1, v31
	v_mul_hi_u32 v21, v1, v19
	v_add_co_u32_e32 v25, vcc, v33, v25
	v_addc_co_u32_e32 v21, vcc, 0, v21, vcc
	v_mul_hi_u32 v36, v15, v31
	v_mul_lo_u32 v31, v15, v31
	v_add_co_u32_e32 v25, vcc, v25, v31
	v_mul_hi_u32 v33, v15, v19
	v_addc_co_u32_e32 v21, vcc, v21, v36, vcc
	v_addc_co_u32_e32 v25, vcc, 0, v33, vcc
	v_mul_lo_u32 v19, v15, v19
	v_add_co_u32_e32 v19, vcc, v21, v19
	v_addc_co_u32_e32 v21, vcc, 0, v25, vcc
	v_add_co_u32_e32 v1, vcc, v1, v19
	v_addc_co_u32_e32 v15, vcc, v15, v21, vcc
	v_mul_lo_u32 v19, s8, v15
	v_mul_hi_u32 v21, s8, v1
	v_add_u32_e32 v19, v21, v19
	v_mul_lo_u32 v21, s9, v1
	v_add_u32_e32 v19, v19, v21
	v_mul_lo_u32 v25, s8, v1
	v_mul_hi_u32 v31, v15, v25
	v_mul_lo_u32 v33, v15, v25
	v_mul_lo_u32 v37, v1, v19
	v_mul_hi_u32 v25, v1, v25
	v_mul_hi_u32 v36, v1, v19
	v_add_co_u32_e32 v25, vcc, v25, v37
	v_addc_co_u32_e32 v36, vcc, 0, v36, vcc
	v_add_co_u32_e32 v25, vcc, v25, v33
	v_mul_hi_u32 v21, v15, v19
	v_addc_co_u32_e32 v25, vcc, v36, v31, vcc
	v_addc_co_u32_e32 v21, vcc, 0, v21, vcc
	v_mul_lo_u32 v19, v15, v19
	v_add_co_u32_e32 v19, vcc, v25, v19
	v_addc_co_u32_e32 v21, vcc, 0, v21, vcc
	v_add_co_u32_e32 v1, vcc, v1, v19
	v_addc_co_u32_e32 v15, vcc, v15, v21, vcc
	v_ashrrev_i32_e32 v19, 31, v35
	v_add_co_u32_e32 v21, vcc, v34, v19
	v_xor_b32_e32 v21, v21, v19
	v_addc_co_u32_e32 v25, vcc, v35, v19, vcc
	v_mad_u64_u32 v[34:35], s[8:9], v21, v15, 0
	v_mul_hi_u32 v31, v21, v1
	v_xor_b32_e32 v25, v25, v19
	v_add_co_u32_e32 v31, vcc, v31, v34
	v_addc_co_u32_e32 v33, vcc, 0, v35, vcc
	v_mad_u64_u32 v[36:37], s[8:9], v25, v1, 0
	v_add_co_u32_e32 v1, vcc, v31, v36
	v_mad_u64_u32 v[34:35], s[8:9], v25, v15, 0
	v_addc_co_u32_e32 v1, vcc, v33, v37, vcc
	v_addc_co_u32_e32 v15, vcc, 0, v35, vcc
	v_add_co_u32_e32 v1, vcc, v1, v34
	v_addc_co_u32_e32 v15, vcc, 0, v15, vcc
	v_mul_lo_u32 v31, s53, v1
	v_mul_lo_u32 v15, s52, v15
	v_mad_u64_u32 v[34:35], s[8:9], s52, v1, 0
	v_add3_u32 v15, v35, v15, v31
	v_sub_u32_e32 v31, v25, v15
	v_mov_b32_e32 v33, s53
	v_sub_co_u32_e32 v21, vcc, v21, v34
	v_subb_co_u32_e64 v31, s[8:9], v31, v33, vcc
	v_subrev_co_u32_e64 v33, s[8:9], s52, v21
	v_subbrev_co_u32_e64 v31, s[8:9], 0, v31, s[8:9]
	v_cmp_le_u32_e64 s[8:9], s53, v31
	v_subb_co_u32_e32 v15, vcc, v25, v15, vcc
	v_cndmask_b32_e64 v34, 0, -1, s[8:9]
	v_cmp_le_u32_e64 s[8:9], s52, v33
	v_cmp_le_u32_e32 vcc, s53, v15
	v_cndmask_b32_e64 v33, 0, -1, s[8:9]
	v_cmp_eq_u32_e64 s[8:9], s53, v31
	v_cndmask_b32_e64 v25, 0, -1, vcc
	v_cmp_le_u32_e32 vcc, s52, v21
	v_cndmask_b32_e64 v31, v34, v33, s[8:9]
	v_cndmask_b32_e64 v21, 0, -1, vcc
	v_cmp_eq_u32_e32 vcc, s53, v15
	v_add_co_u32_e64 v33, s[8:9], 2, v1
	v_add_co_u32_e64 v34, s[8:9], 1, v1
	v_cndmask_b32_e32 v15, v25, v21, vcc
	v_cmp_ne_u32_e32 vcc, 0, v31
	v_cndmask_b32_e32 v21, v34, v33, vcc
	v_cmp_ne_u32_e32 vcc, 0, v15
	v_cndmask_b32_e32 v1, v1, v21, vcc
	v_xor_b32_e32 v15, s50, v19
	v_xor_b32_e32 v1, v1, v15
	v_sub_co_u32_e32 v36, vcc, v1, v15
                                        ; implicit-def: $vgpr15
                                        ; implicit-def: $vgpr34_vgpr35
.LBB10_79:                              ;   in Loop: Header=BB10_69 Depth=5
	s_andn2_saveexec_b64 s[8:9], s[48:49]
	s_cbranch_execz .LBB10_68
; %bb.80:                               ;   in Loop: Header=BB10_69 Depth=5
	v_rcp_iflag_f32_e32 v1, v15
	s_sub_i32 s29, 0, s61
	v_mul_f32_e32 v1, 0x4f7ffffe, v1
	v_cvt_u32_f32_e32 v1, v1
	v_mul_lo_u32 v15, s29, v1
	v_mul_hi_u32 v15, v1, v15
	v_add_u32_e32 v1, v1, v15
	v_mul_hi_u32 v1, v34, v1
	v_mul_lo_u32 v15, v1, s61
	v_sub_u32_e32 v15, v34, v15
	v_add_u32_e32 v19, 1, v1
	v_subrev_u32_e32 v21, s61, v15
	v_cmp_le_u32_e32 vcc, s61, v15
	v_cndmask_b32_e32 v15, v15, v21, vcc
	v_cndmask_b32_e32 v1, v1, v19, vcc
	v_add_u32_e32 v19, 1, v1
	v_cmp_le_u32_e32 vcc, s61, v15
	v_cndmask_b32_e32 v36, v1, v19, vcc
	s_branch .LBB10_68
.LBB10_81:                              ;   in Loop: Header=BB10_42 Depth=3
                                        ; implicit-def: $vgpr18_vgpr19
	v_cvt_f32_u32_e32 v1, s18
	s_branch .LBB10_44
.LBB10_82:                              ;   in Loop: Header=BB10_42 Depth=3
                                        ; implicit-def: $sgpr42_sgpr43
	s_branch .LBB10_47
.LBB10_83:                              ;   in Loop: Header=BB10_42 Depth=3
                                        ; implicit-def: $vgpr20_vgpr21
	s_branch .LBB10_50
.LBB10_84:
	s_endpgm
.LBB10_85:
                                        ; implicit-def: $sgpr8_sgpr9
	v_cvt_f32_u32_e32 v1, s10
	s_branch .LBB10_2
.LBB10_86:
                                        ; implicit-def: $sgpr20_sgpr21
	s_branch .LBB10_5
.LBB10_87:
                                        ; implicit-def: $vgpr4_vgpr5
	s_load_dword s0, s[4:5], 0x3c
	s_andn2_b64 vcc, exec, s[24:25]
	s_cbranch_vccz .LBB10_8
	s_branch .LBB10_9
	.section	.rodata,"a",@progbits
	.p2align	6, 0x0
	.amdhsa_kernel _ZN2at6native12_GLOBAL__N_124adaptiveaveragegradinputIN3c104HalfEfEEvPT_PKS5_iiiiiil
		.amdhsa_group_segment_fixed_size 0
		.amdhsa_private_segment_fixed_size 0
		.amdhsa_kernarg_size 304
		.amdhsa_user_sgpr_count 6
		.amdhsa_user_sgpr_private_segment_buffer 1
		.amdhsa_user_sgpr_dispatch_ptr 0
		.amdhsa_user_sgpr_queue_ptr 0
		.amdhsa_user_sgpr_kernarg_segment_ptr 1
		.amdhsa_user_sgpr_dispatch_id 0
		.amdhsa_user_sgpr_flat_scratch_init 0
		.amdhsa_user_sgpr_kernarg_preload_length 0
		.amdhsa_user_sgpr_kernarg_preload_offset 0
		.amdhsa_user_sgpr_private_segment_size 0
		.amdhsa_uses_dynamic_stack 0
		.amdhsa_system_sgpr_private_segment_wavefront_offset 0
		.amdhsa_system_sgpr_workgroup_id_x 1
		.amdhsa_system_sgpr_workgroup_id_y 1
		.amdhsa_system_sgpr_workgroup_id_z 0
		.amdhsa_system_sgpr_workgroup_info 0
		.amdhsa_system_vgpr_workitem_id 1
		.amdhsa_next_free_vgpr 44
		.amdhsa_next_free_sgpr 64
		.amdhsa_accum_offset 44
		.amdhsa_reserve_vcc 1
		.amdhsa_reserve_flat_scratch 0
		.amdhsa_float_round_mode_32 0
		.amdhsa_float_round_mode_16_64 0
		.amdhsa_float_denorm_mode_32 3
		.amdhsa_float_denorm_mode_16_64 3
		.amdhsa_dx10_clamp 1
		.amdhsa_ieee_mode 1
		.amdhsa_fp16_overflow 0
		.amdhsa_tg_split 0
		.amdhsa_exception_fp_ieee_invalid_op 0
		.amdhsa_exception_fp_denorm_src 0
		.amdhsa_exception_fp_ieee_div_zero 0
		.amdhsa_exception_fp_ieee_overflow 0
		.amdhsa_exception_fp_ieee_underflow 0
		.amdhsa_exception_fp_ieee_inexact 0
		.amdhsa_exception_int_div_zero 0
	.end_amdhsa_kernel
	.section	.text._ZN2at6native12_GLOBAL__N_124adaptiveaveragegradinputIN3c104HalfEfEEvPT_PKS5_iiiiiil,"axG",@progbits,_ZN2at6native12_GLOBAL__N_124adaptiveaveragegradinputIN3c104HalfEfEEvPT_PKS5_iiiiiil,comdat
.Lfunc_end10:
	.size	_ZN2at6native12_GLOBAL__N_124adaptiveaveragegradinputIN3c104HalfEfEEvPT_PKS5_iiiiiil, .Lfunc_end10-_ZN2at6native12_GLOBAL__N_124adaptiveaveragegradinputIN3c104HalfEfEEvPT_PKS5_iiiiiil
                                        ; -- End function
	.section	.AMDGPU.csdata,"",@progbits
; Kernel info:
; codeLenInByte = 14360
; NumSgprs: 68
; NumVgprs: 44
; NumAgprs: 0
; TotalNumVgprs: 44
; ScratchSize: 0
; MemoryBound: 0
; FloatMode: 240
; IeeeMode: 1
; LDSByteSize: 0 bytes/workgroup (compile time only)
; SGPRBlocks: 8
; VGPRBlocks: 5
; NumSGPRsForWavesPerEU: 68
; NumVGPRsForWavesPerEU: 44
; AccumOffset: 44
; Occupancy: 8
; WaveLimiterHint : 0
; COMPUTE_PGM_RSRC2:SCRATCH_EN: 0
; COMPUTE_PGM_RSRC2:USER_SGPR: 6
; COMPUTE_PGM_RSRC2:TRAP_HANDLER: 0
; COMPUTE_PGM_RSRC2:TGID_X_EN: 1
; COMPUTE_PGM_RSRC2:TGID_Y_EN: 1
; COMPUTE_PGM_RSRC2:TGID_Z_EN: 0
; COMPUTE_PGM_RSRC2:TIDIG_COMP_CNT: 1
; COMPUTE_PGM_RSRC3_GFX90A:ACCUM_OFFSET: 10
; COMPUTE_PGM_RSRC3_GFX90A:TG_SPLIT: 0
	.section	.text._ZN2at6native12_GLOBAL__N_124adaptiveaveragegradinputIN3c108BFloat16EfEEvPT_PKS5_iiiiiil,"axG",@progbits,_ZN2at6native12_GLOBAL__N_124adaptiveaveragegradinputIN3c108BFloat16EfEEvPT_PKS5_iiiiiil,comdat
	.globl	_ZN2at6native12_GLOBAL__N_124adaptiveaveragegradinputIN3c108BFloat16EfEEvPT_PKS5_iiiiiil ; -- Begin function _ZN2at6native12_GLOBAL__N_124adaptiveaveragegradinputIN3c108BFloat16EfEEvPT_PKS5_iiiiiil
	.p2align	8
	.type	_ZN2at6native12_GLOBAL__N_124adaptiveaveragegradinputIN3c108BFloat16EfEEvPT_PKS5_iiiiiil,@function
_ZN2at6native12_GLOBAL__N_124adaptiveaveragegradinputIN3c108BFloat16EfEEvPT_PKS5_iiiiiil: ; @_ZN2at6native12_GLOBAL__N_124adaptiveaveragegradinputIN3c108BFloat16EfEEvPT_PKS5_iiiiiil
; %bb.0:
	s_load_dwordx8 s[12:19], s[4:5], 0x10
	s_mov_b32 s0, 0
	s_waitcnt lgkmcnt(0)
	s_add_u32 s2, s6, s18
	s_addc_u32 s3, 0, s19
	s_ashr_i32 s11, s12, 31
	s_mov_b32 s10, s12
	s_or_b64 s[8:9], s[2:3], s[10:11]
	s_mov_b32 s1, s9
	s_cmp_lg_u64 s[0:1], 0
	s_cbranch_scc0 .LBB11_85
; %bb.1:
	s_add_u32 s0, s10, s11
	s_mov_b32 s8, s11
	s_mov_b32 s9, s11
	s_addc_u32 s1, s11, s11
	s_xor_b64 s[20:21], s[0:1], s[8:9]
	v_cvt_f32_u32_e32 v1, s20
	v_cvt_f32_u32_e32 v2, s21
	s_sub_u32 s0, 0, s20
	s_subb_u32 s1, 0, s21
	v_madmk_f32 v1, v2, 0x4f800000, v1
	v_rcp_f32_e32 v1, v1
	v_mul_f32_e32 v1, 0x5f7ffffc, v1
	v_mul_f32_e32 v2, 0x2f800000, v1
	v_trunc_f32_e32 v2, v2
	v_madmk_f32 v1, v2, 0xcf800000, v1
	v_cvt_u32_f32_e32 v2, v2
	v_cvt_u32_f32_e32 v1, v1
	v_readfirstlane_b32 s6, v2
	v_readfirstlane_b32 s12, v1
	s_mul_i32 s22, s0, s6
	s_mul_hi_u32 s24, s0, s12
	s_mul_i32 s23, s1, s12
	s_add_i32 s22, s24, s22
	s_add_i32 s22, s22, s23
	s_mul_i32 s25, s0, s12
	s_mul_hi_u32 s23, s12, s22
	s_mul_i32 s24, s12, s22
	s_mul_hi_u32 s12, s12, s25
	s_add_u32 s12, s12, s24
	s_addc_u32 s23, 0, s23
	s_mul_hi_u32 s26, s6, s25
	s_mul_i32 s25, s6, s25
	s_add_u32 s12, s12, s25
	s_mul_hi_u32 s24, s6, s22
	s_addc_u32 s12, s23, s26
	s_addc_u32 s23, s24, 0
	s_mul_i32 s22, s6, s22
	s_add_u32 s12, s12, s22
	s_addc_u32 s22, 0, s23
	v_add_co_u32_e32 v1, vcc, s12, v1
	s_cmp_lg_u64 vcc, 0
	s_addc_u32 s6, s6, s22
	v_readfirstlane_b32 s22, v1
	s_mul_i32 s12, s0, s6
	s_mul_hi_u32 s23, s0, s22
	s_add_i32 s12, s23, s12
	s_mul_i32 s1, s1, s22
	s_add_i32 s12, s12, s1
	s_mul_i32 s0, s0, s22
	s_mul_hi_u32 s23, s6, s0
	s_mul_i32 s24, s6, s0
	s_mul_i32 s26, s22, s12
	s_mul_hi_u32 s0, s22, s0
	s_mul_hi_u32 s25, s22, s12
	s_add_u32 s0, s0, s26
	s_addc_u32 s22, 0, s25
	s_add_u32 s0, s0, s24
	s_mul_hi_u32 s1, s6, s12
	s_addc_u32 s0, s22, s23
	s_addc_u32 s1, s1, 0
	s_mul_i32 s12, s6, s12
	s_add_u32 s0, s0, s12
	s_addc_u32 s1, 0, s1
	v_add_co_u32_e32 v1, vcc, s0, v1
	s_cmp_lg_u64 vcc, 0
	s_addc_u32 s6, s6, s1
	s_ashr_i32 s22, s3, 31
	s_add_u32 s0, s2, s22
	s_mov_b32 s23, s22
	s_addc_u32 s1, s3, s22
	s_xor_b64 s[24:25], s[0:1], s[22:23]
	v_readfirstlane_b32 s12, v1
	s_mul_i32 s1, s24, s6
	s_mul_hi_u32 s26, s24, s12
	s_mul_hi_u32 s0, s24, s6
	s_add_u32 s1, s26, s1
	s_addc_u32 s0, 0, s0
	s_mul_hi_u32 s27, s25, s12
	s_mul_i32 s12, s25, s12
	s_add_u32 s1, s1, s12
	s_mul_hi_u32 s26, s25, s6
	s_addc_u32 s0, s0, s27
	s_addc_u32 s1, s26, 0
	s_mul_i32 s6, s25, s6
	s_add_u32 s6, s0, s6
	s_addc_u32 s12, 0, s1
	s_mul_i32 s0, s20, s12
	s_mul_hi_u32 s1, s20, s6
	s_add_i32 s0, s1, s0
	s_mul_i32 s1, s21, s6
	s_add_i32 s26, s0, s1
	s_mul_i32 s1, s20, s6
	v_mov_b32_e32 v1, s1
	s_sub_i32 s0, s25, s26
	v_sub_co_u32_e32 v1, vcc, s24, v1
	s_cmp_lg_u64 vcc, 0
	s_subb_u32 s24, s0, s21
	v_subrev_co_u32_e64 v2, s[0:1], s20, v1
	s_cmp_lg_u64 s[0:1], 0
	s_subb_u32 s0, s24, 0
	s_cmp_ge_u32 s0, s21
	v_readfirstlane_b32 s24, v2
	s_cselect_b32 s1, -1, 0
	s_cmp_ge_u32 s24, s20
	s_cselect_b32 s24, -1, 0
	s_cmp_eq_u32 s0, s21
	s_cselect_b32 s0, s24, s1
	s_add_u32 s1, s6, 1
	s_addc_u32 s24, s12, 0
	s_add_u32 s27, s6, 2
	s_addc_u32 s28, s12, 0
	s_cmp_lg_u32 s0, 0
	s_cselect_b32 s0, s27, s1
	s_cselect_b32 s1, s28, s24
	s_cmp_lg_u64 vcc, 0
	s_subb_u32 s24, s25, s26
	s_cmp_ge_u32 s24, s21
	v_readfirstlane_b32 s26, v1
	s_cselect_b32 s25, -1, 0
	s_cmp_ge_u32 s26, s20
	s_cselect_b32 s20, -1, 0
	s_cmp_eq_u32 s24, s21
	s_cselect_b32 s20, s20, s25
	s_cmp_lg_u32 s20, 0
	s_cselect_b32 s1, s1, s12
	s_cselect_b32 s0, s0, s6
	s_xor_b64 s[8:9], s[22:23], s[8:9]
	s_xor_b64 s[0:1], s[0:1], s[8:9]
	s_sub_u32 s8, s0, s8
	s_subb_u32 s9, s1, s9
	v_cvt_f32_u32_e32 v1, s10
	s_cbranch_execnz .LBB11_3
.LBB11_2:
	v_rcp_iflag_f32_e32 v2, v1
	s_sub_i32 s0, 0, s10
	s_mov_b32 s9, 0
	v_mul_f32_e32 v2, 0x4f7ffffe, v2
	v_cvt_u32_f32_e32 v2, v2
	v_readfirstlane_b32 s1, v2
	s_mul_i32 s0, s0, s1
	s_mul_hi_u32 s0, s1, s0
	s_add_i32 s1, s1, s0
	s_mul_hi_u32 s0, s2, s1
	s_mul_i32 s6, s0, s10
	s_sub_i32 s6, s2, s6
	s_add_i32 s1, s0, 1
	s_sub_i32 s8, s6, s10
	s_cmp_ge_u32 s6, s10
	s_cselect_b32 s0, s1, s0
	s_cselect_b32 s6, s8, s6
	s_add_i32 s1, s0, 1
	s_cmp_ge_u32 s6, s10
	s_cselect_b32 s8, s1, s0
.LBB11_3:
	s_mul_i32 s0, s8, s11
	s_mul_hi_u32 s1, s8, s10
	s_add_i32 s0, s1, s0
	s_mul_i32 s1, s9, s10
	s_add_i32 s0, s0, s1
	s_mul_i32 s1, s8, s10
	s_sub_u32 s1, s2, s1
	s_subb_u32 s0, s3, s0
	s_ashr_i32 s19, s15, 31
	s_mul_i32 s6, s1, s19
	s_mul_hi_u32 s9, s1, s15
	s_add_i32 s6, s9, s6
	s_mul_i32 s0, s0, s15
	s_add_i32 s23, s6, s0
	s_mul_i32 s22, s1, s15
	s_or_b64 s[0:1], s[22:23], s[10:11]
	s_mov_b32 s0, 0
	s_cmp_lg_u64 s[0:1], 0
	s_mov_b32 s18, s15
	s_cbranch_scc0 .LBB11_86
; %bb.4:
	s_add_u32 s0, s10, s11
	s_mov_b32 s20, s11
	s_mov_b32 s21, s11
	s_addc_u32 s1, s11, s11
	s_xor_b64 s[26:27], s[0:1], s[20:21]
	v_cvt_f32_u32_e32 v2, s26
	v_cvt_f32_u32_e32 v3, s27
	s_sub_u32 s0, 0, s26
	s_subb_u32 s1, 0, s27
	v_madmk_f32 v2, v3, 0x4f800000, v2
	v_rcp_f32_e32 v2, v2
	v_mul_f32_e32 v2, 0x5f7ffffc, v2
	v_mul_f32_e32 v3, 0x2f800000, v2
	v_trunc_f32_e32 v3, v3
	v_madmk_f32 v2, v3, 0xcf800000, v2
	v_cvt_u32_f32_e32 v3, v3
	v_cvt_u32_f32_e32 v2, v2
	v_readfirstlane_b32 s6, v3
	v_readfirstlane_b32 s9, v2
	s_mul_i32 s12, s0, s6
	s_mul_hi_u32 s29, s0, s9
	s_mul_i32 s28, s1, s9
	s_add_i32 s12, s29, s12
	s_add_i32 s12, s12, s28
	s_mul_i32 s30, s0, s9
	s_mul_hi_u32 s28, s9, s12
	s_mul_i32 s29, s9, s12
	s_mul_hi_u32 s9, s9, s30
	s_add_u32 s9, s9, s29
	s_addc_u32 s28, 0, s28
	s_mul_hi_u32 s31, s6, s30
	s_mul_i32 s30, s6, s30
	s_add_u32 s9, s9, s30
	s_mul_hi_u32 s29, s6, s12
	s_addc_u32 s9, s28, s31
	s_addc_u32 s28, s29, 0
	s_mul_i32 s12, s6, s12
	s_add_u32 s9, s9, s12
	s_addc_u32 s12, 0, s28
	v_add_co_u32_e32 v2, vcc, s9, v2
	s_cmp_lg_u64 vcc, 0
	s_addc_u32 s6, s6, s12
	v_readfirstlane_b32 s12, v2
	s_mul_i32 s9, s0, s6
	s_mul_hi_u32 s28, s0, s12
	s_add_i32 s9, s28, s9
	s_mul_i32 s1, s1, s12
	s_add_i32 s9, s9, s1
	s_mul_i32 s0, s0, s12
	s_mul_hi_u32 s28, s6, s0
	s_mul_i32 s29, s6, s0
	s_mul_i32 s31, s12, s9
	s_mul_hi_u32 s0, s12, s0
	s_mul_hi_u32 s30, s12, s9
	s_add_u32 s0, s0, s31
	s_addc_u32 s12, 0, s30
	s_add_u32 s0, s0, s29
	s_mul_hi_u32 s1, s6, s9
	s_addc_u32 s0, s12, s28
	s_addc_u32 s1, s1, 0
	s_mul_i32 s9, s6, s9
	s_add_u32 s0, s0, s9
	s_addc_u32 s1, 0, s1
	v_add_co_u32_e32 v2, vcc, s0, v2
	s_cmp_lg_u64 vcc, 0
	s_addc_u32 s6, s6, s1
	s_ashr_i32 s28, s23, 31
	s_add_u32 s0, s22, s28
	s_mov_b32 s29, s28
	s_addc_u32 s1, s23, s28
	s_xor_b64 s[30:31], s[0:1], s[28:29]
	v_readfirstlane_b32 s9, v2
	s_mul_i32 s1, s30, s6
	s_mul_hi_u32 s12, s30, s9
	s_mul_hi_u32 s0, s30, s6
	s_add_u32 s1, s12, s1
	s_addc_u32 s0, 0, s0
	s_mul_hi_u32 s33, s31, s9
	s_mul_i32 s9, s31, s9
	s_add_u32 s1, s1, s9
	s_mul_hi_u32 s12, s31, s6
	s_addc_u32 s0, s0, s33
	s_addc_u32 s1, s12, 0
	s_mul_i32 s6, s31, s6
	s_add_u32 s6, s0, s6
	s_addc_u32 s9, 0, s1
	s_mul_i32 s0, s26, s9
	s_mul_hi_u32 s1, s26, s6
	s_add_i32 s0, s1, s0
	s_mul_i32 s1, s27, s6
	s_add_i32 s12, s0, s1
	s_mul_i32 s1, s26, s6
	v_mov_b32_e32 v2, s1
	s_sub_i32 s0, s31, s12
	v_sub_co_u32_e32 v2, vcc, s30, v2
	s_cmp_lg_u64 vcc, 0
	s_subb_u32 s30, s0, s27
	v_subrev_co_u32_e64 v3, s[0:1], s26, v2
	s_cmp_lg_u64 s[0:1], 0
	s_subb_u32 s0, s30, 0
	s_cmp_ge_u32 s0, s27
	v_readfirstlane_b32 s30, v3
	s_cselect_b32 s1, -1, 0
	s_cmp_ge_u32 s30, s26
	s_cselect_b32 s30, -1, 0
	s_cmp_eq_u32 s0, s27
	s_cselect_b32 s0, s30, s1
	s_add_u32 s1, s6, 1
	s_addc_u32 s30, s9, 0
	s_add_u32 s33, s6, 2
	s_addc_u32 s34, s9, 0
	s_cmp_lg_u32 s0, 0
	s_cselect_b32 s0, s33, s1
	s_cselect_b32 s1, s34, s30
	s_cmp_lg_u64 vcc, 0
	s_subb_u32 s12, s31, s12
	s_cmp_ge_u32 s12, s27
	v_readfirstlane_b32 s31, v2
	s_cselect_b32 s30, -1, 0
	s_cmp_ge_u32 s31, s26
	s_cselect_b32 s26, -1, 0
	s_cmp_eq_u32 s12, s27
	s_cselect_b32 s12, s26, s30
	s_cmp_lg_u32 s12, 0
	s_cselect_b32 s1, s1, s9
	s_cselect_b32 s0, s0, s6
	s_xor_b64 s[20:21], s[28:29], s[20:21]
	s_xor_b64 s[0:1], s[0:1], s[20:21]
	s_sub_u32 s20, s0, s20
	s_cbranch_execnz .LBB11_6
.LBB11_5:
	v_rcp_iflag_f32_e32 v2, v1
	s_sub_i32 s0, 0, s10
	v_mul_f32_e32 v2, 0x4f7ffffe, v2
	v_cvt_u32_f32_e32 v2, v2
	v_readfirstlane_b32 s1, v2
	s_mul_i32 s0, s0, s1
	s_mul_hi_u32 s0, s1, s0
	s_add_i32 s1, s1, s0
	s_mul_hi_u32 s0, s22, s1
	s_mul_i32 s6, s0, s10
	s_sub_i32 s6, s22, s6
	s_add_i32 s1, s0, 1
	s_sub_i32 s9, s6, s10
	s_cmp_ge_u32 s6, s10
	s_cselect_b32 s0, s1, s0
	s_cselect_b32 s6, s9, s6
	s_add_i32 s1, s0, 1
	s_cmp_ge_u32 s6, s10
	s_cselect_b32 s20, s1, s0
.LBB11_6:
	s_add_u32 s0, s22, s18
	s_addc_u32 s1, s23, s19
	s_add_u32 s22, s0, -1
	s_addc_u32 s23, s1, -1
	s_or_b64 s[0:1], s[22:23], s[10:11]
	s_mov_b32 s0, 0
	s_cmp_lg_u64 s[0:1], 0
	s_mov_b64 s[24:25], -1
	s_cbranch_scc0 .LBB11_87
; %bb.7:
	s_add_u32 s0, s10, s11
	s_mov_b32 s26, s11
	s_mov_b32 s27, s11
	s_addc_u32 s1, s11, s11
	s_xor_b64 s[28:29], s[0:1], s[26:27]
	v_cvt_f32_u32_e32 v2, s28
	v_cvt_f32_u32_e32 v3, s29
	s_sub_u32 s0, 0, s28
	s_subb_u32 s1, 0, s29
	v_madmk_f32 v2, v3, 0x4f800000, v2
	v_rcp_f32_e32 v2, v2
	v_mul_f32_e32 v2, 0x5f7ffffc, v2
	v_mul_f32_e32 v3, 0x2f800000, v2
	v_trunc_f32_e32 v3, v3
	v_madmk_f32 v2, v3, 0xcf800000, v2
	v_cvt_u32_f32_e32 v3, v3
	v_cvt_u32_f32_e32 v2, v2
	v_readfirstlane_b32 s6, v3
	v_readfirstlane_b32 s9, v2
	s_mul_i32 s12, s0, s6
	s_mul_hi_u32 s30, s0, s9
	s_mul_i32 s21, s1, s9
	s_add_i32 s12, s30, s12
	s_add_i32 s12, s12, s21
	s_mul_i32 s31, s0, s9
	s_mul_hi_u32 s21, s9, s12
	s_mul_i32 s30, s9, s12
	s_mul_hi_u32 s9, s9, s31
	s_add_u32 s9, s9, s30
	s_addc_u32 s21, 0, s21
	s_mul_hi_u32 s33, s6, s31
	s_mul_i32 s31, s6, s31
	s_add_u32 s9, s9, s31
	s_mul_hi_u32 s30, s6, s12
	s_addc_u32 s9, s21, s33
	s_addc_u32 s21, s30, 0
	s_mul_i32 s12, s6, s12
	s_add_u32 s9, s9, s12
	s_addc_u32 s12, 0, s21
	v_add_co_u32_e32 v2, vcc, s9, v2
	s_cmp_lg_u64 vcc, 0
	s_addc_u32 s6, s6, s12
	v_readfirstlane_b32 s12, v2
	s_mul_i32 s9, s0, s6
	s_mul_hi_u32 s21, s0, s12
	s_add_i32 s9, s21, s9
	s_mul_i32 s1, s1, s12
	s_add_i32 s9, s9, s1
	s_mul_i32 s0, s0, s12
	s_mul_hi_u32 s21, s6, s0
	s_mul_i32 s30, s6, s0
	s_mul_i32 s33, s12, s9
	s_mul_hi_u32 s0, s12, s0
	s_mul_hi_u32 s31, s12, s9
	s_add_u32 s0, s0, s33
	s_addc_u32 s12, 0, s31
	s_add_u32 s0, s0, s30
	s_mul_hi_u32 s1, s6, s9
	s_addc_u32 s0, s12, s21
	s_addc_u32 s1, s1, 0
	s_mul_i32 s9, s6, s9
	s_add_u32 s0, s0, s9
	s_addc_u32 s1, 0, s1
	v_add_co_u32_e32 v2, vcc, s0, v2
	s_cmp_lg_u64 vcc, 0
	s_addc_u32 s6, s6, s1
	s_ashr_i32 s30, s23, 31
	s_add_u32 s0, s22, s30
	s_mov_b32 s31, s30
	s_addc_u32 s1, s23, s30
	s_xor_b64 s[34:35], s[0:1], s[30:31]
	v_readfirstlane_b32 s9, v2
	s_mul_i32 s1, s34, s6
	s_mul_hi_u32 s12, s34, s9
	s_mul_hi_u32 s0, s34, s6
	s_add_u32 s1, s12, s1
	s_addc_u32 s0, 0, s0
	s_mul_hi_u32 s21, s35, s9
	s_mul_i32 s9, s35, s9
	s_add_u32 s1, s1, s9
	s_mul_hi_u32 s12, s35, s6
	s_addc_u32 s0, s0, s21
	s_addc_u32 s1, s12, 0
	s_mul_i32 s6, s35, s6
	s_add_u32 s6, s0, s6
	s_addc_u32 s0, 0, s1
	s_mul_i32 s0, s28, s0
	s_mul_hi_u32 s1, s28, s6
	s_add_i32 s0, s1, s0
	s_mul_i32 s1, s29, s6
	s_add_i32 s9, s0, s1
	s_mul_i32 s1, s28, s6
	v_mov_b32_e32 v2, s1
	s_sub_i32 s0, s35, s9
	v_sub_co_u32_e32 v2, vcc, s34, v2
	s_cmp_lg_u64 vcc, 0
	s_subb_u32 s12, s0, s29
	v_subrev_co_u32_e64 v3, s[0:1], s28, v2
	s_cmp_lg_u64 s[0:1], 0
	s_subb_u32 s12, s12, 0
	s_cmp_ge_u32 s12, s29
	s_cselect_b32 s21, -1, 0
	v_cmp_le_u32_e64 s[0:1], s28, v3
	s_cmp_eq_u32 s12, s29
	v_cndmask_b32_e64 v3, 0, -1, s[0:1]
	v_mov_b32_e32 v4, s21
	s_cselect_b64 s[0:1], -1, 0
	v_cndmask_b32_e64 v3, v4, v3, s[0:1]
	s_add_u32 s0, s6, 1
	s_add_u32 s1, s6, 2
	v_mov_b32_e32 v4, s0
	v_mov_b32_e32 v5, s1
	v_cmp_ne_u32_e64 s[0:1], 0, v3
	s_cmp_lg_u64 vcc, 0
	v_cndmask_b32_e64 v3, v4, v5, s[0:1]
	s_subb_u32 s0, s35, s9
	s_cmp_ge_u32 s0, s29
	s_cselect_b32 s1, -1, 0
	v_cmp_le_u32_e32 vcc, s28, v2
	s_cmp_eq_u32 s0, s29
	v_cndmask_b32_e64 v2, 0, -1, vcc
	v_mov_b32_e32 v4, s1
	s_cselect_b64 vcc, -1, 0
	v_cndmask_b32_e32 v2, v4, v2, vcc
	v_mov_b32_e32 v4, s6
	v_cmp_ne_u32_e32 vcc, 0, v2
	v_cndmask_b32_e32 v2, v4, v3, vcc
	s_xor_b64 s[0:1], s[30:31], s[26:27]
	v_xor_b32_e32 v2, s0, v2
	v_subrev_co_u32_e32 v4, vcc, s0, v2
	s_load_dword s0, s[4:5], 0x3c
	s_cbranch_execnz .LBB11_9
.LBB11_8:
	v_rcp_iflag_f32_e32 v1, v1
	s_sub_i32 s1, 0, s10
	v_mul_f32_e32 v1, 0x4f7ffffe, v1
	v_cvt_u32_f32_e32 v1, v1
	v_mul_lo_u32 v2, s1, v1
	v_mul_hi_u32 v2, v1, v2
	v_add_u32_e32 v1, v1, v2
	v_mul_hi_u32 v1, s22, v1
	v_mul_lo_u32 v3, v1, s10
	v_sub_u32_e32 v3, s22, v3
	v_add_u32_e32 v2, 1, v1
	v_subrev_u32_e32 v4, s10, v3
	v_cmp_le_u32_e32 vcc, s10, v3
	v_cndmask_b32_e32 v3, v3, v4, vcc
	v_cndmask_b32_e32 v1, v1, v2, vcc
	v_add_u32_e32 v2, 1, v1
	v_cmp_le_u32_e32 vcc, s10, v3
	v_cndmask_b32_e32 v4, v1, v2, vcc
.LBB11_9:
	s_waitcnt lgkmcnt(0)
	s_lshr_b32 s1, s0, 16
	s_mul_i32 s7, s7, s1
	v_bfe_u32 v1, v0, 10, 10
	v_add_u32_e32 v2, s7, v1
	v_cmp_gt_i32_e32 vcc, s13, v2
	s_and_saveexec_b64 s[6:7], vcc
	s_cbranch_execz .LBB11_84
; %bb.10:
	s_load_dword s6, s[4:5], 0x34
	s_load_dwordx4 s[24:27], s[4:5], 0x0
	s_mul_i32 s5, s14, s13
	s_mul_hi_i32 s4, s14, s13
	s_mul_i32 s3, s5, s3
	s_mul_hi_u32 s7, s5, s2
	s_add_i32 s3, s7, s3
	s_mul_i32 s4, s4, s2
	s_add_i32 s3, s3, s4
	s_mul_i32 s2, s5, s2
	s_ashr_i32 s12, s13, 31
	s_ashr_i32 s33, s14, 31
	s_lshl_b64 s[2:3], s[2:3], 1
	s_waitcnt lgkmcnt(0)
	s_add_u32 s55, s24, s2
	s_mul_i32 s2, s8, s15
	s_addc_u32 s56, s25, s3
	s_add_i32 s2, s2, s20
	s_mul_i32 s4, s17, s16
	s_mul_i32 s2, s4, s2
	s_ashr_i32 s3, s2, 31
	s_lshl_b64 s[2:3], s[2:3], 1
	s_add_u32 s22, s26, s2
	s_addc_u32 s23, s27, s3
	s_ashr_i32 s62, s13, 31
	s_add_i32 s2, s13, s62
	s_xor_b32 s63, s2, s62
	v_and_b32_e32 v39, 0x3ff, v0
	v_cvt_f32_u32_e32 v0, s63
	s_mov_b32 s21, s13
	v_cvt_f32_u32_e32 v3, s21
	s_ashr_i32 s5, s4, 31
	v_rcp_iflag_f32_e32 v1, v0
	s_lshl_b64 s[24:25], s[4:5], 1
	v_rcp_iflag_f32_e32 v3, v3
	s_sub_i32 s4, 0, s63
	v_mul_f32_e32 v1, 0x4f7ffffe, v1
	v_cvt_u32_f32_e32 v1, v1
	v_mul_f32_e32 v3, 0x4f7ffffe, v3
	v_cvt_u32_f32_e32 v3, v3
	v_add_u32_e32 v38, 1, v4
	v_mul_lo_u32 v4, s4, v1
	v_mul_hi_u32 v4, v1, v4
	s_sub_i32 s4, 0, s13
	v_add_u32_e32 v40, v1, v4
	v_mul_lo_u32 v1, s4, v3
	v_mul_hi_u32 v1, v3, v1
	s_mov_b32 s54, s14
	s_mul_i32 s15, s6, s1
	s_and_b32 s57, s0, 0xffff
	s_ashr_i32 s58, s16, 31
	s_mov_b32 s59, s16
	v_cmp_gt_i32_e64 s[0:1], s14, v39
	s_ashr_i32 s60, s17, 31
	s_mov_b32 s61, s17
	v_cmp_lt_i32_e64 s[2:3], s20, v38
	s_mov_b64 s[26:27], 0
	v_mov_b32_e32 v0, 0
	s_mov_b32 s28, 0
	s_movk_i32 s64, 0x7fff
	v_add_u32_e32 v41, v3, v1
	v_mov_b32_e32 v42, 0x7fc00000
	v_mov_b32_e32 v43, 0x7fc0
	s_branch .LBB11_12
.LBB11_11:                              ;   in Loop: Header=BB11_12 Depth=1
	s_or_b64 exec, exec, s[30:31]
	v_add_u32_e32 v2, s15, v2
	v_cmp_le_i32_e32 vcc, s13, v2
	s_or_b64 s[26:27], vcc, s[26:27]
	s_andn2_b64 exec, exec, s[26:27]
	s_cbranch_execz .LBB11_84
.LBB11_12:                              ; =>This Loop Header: Depth=1
                                        ;     Child Loop BB11_27 Depth 2
                                        ;       Child Loop BB11_42 Depth 3
                                        ;         Child Loop BB11_54 Depth 4
                                        ;           Child Loop BB11_69 Depth 5
	v_ashrrev_i32_e32 v3, 31, v2
	v_or_b32_e32 v1, s12, v3
	v_cmp_ne_u64_e32 vcc, 0, v[0:1]
                                        ; implicit-def: $vgpr6_vgpr7
	s_and_saveexec_b64 s[4:5], vcc
	s_xor_b64 s[4:5], exec, s[4:5]
	s_cbranch_execz .LBB11_14
; %bb.13:                               ;   in Loop: Header=BB11_12 Depth=1
	v_ashrrev_i32_e32 v1, 31, v2
	v_add_u32_e32 v4, v2, v1
	v_xor_b32_e32 v4, v4, v1
	v_mul_hi_u32 v5, v4, v40
	v_mul_lo_u32 v6, v5, s63
	v_sub_u32_e32 v4, v4, v6
	v_subrev_u32_e32 v6, s63, v4
	v_cmp_le_u32_e32 vcc, s63, v4
	v_cndmask_b32_e32 v4, v4, v6, vcc
	v_add_u32_e32 v6, 1, v5
	v_cndmask_b32_e32 v5, v5, v6, vcc
	v_add_u32_e32 v6, 1, v5
	v_cmp_le_u32_e32 vcc, s63, v4
	v_cndmask_b32_e32 v4, v5, v6, vcc
	v_xor_b32_e32 v1, s62, v1
	v_xor_b32_e32 v4, v4, v1
	v_sub_u32_e32 v6, v4, v1
	v_ashrrev_i32_e32 v7, 31, v6
.LBB11_14:                              ;   in Loop: Header=BB11_12 Depth=1
	s_andn2_saveexec_b64 s[4:5], s[4:5]
	s_cbranch_execz .LBB11_16
; %bb.15:                               ;   in Loop: Header=BB11_12 Depth=1
	v_mul_hi_u32 v1, v2, v41
	v_mul_lo_u32 v4, v1, s21
	v_sub_u32_e32 v4, v2, v4
	v_subrev_u32_e32 v5, s21, v4
	v_cmp_le_u32_e32 vcc, s21, v4
	v_cndmask_b32_e32 v4, v4, v5, vcc
	v_add_u32_e32 v5, 1, v1
	v_cndmask_b32_e32 v1, v1, v5, vcc
	v_add_u32_e32 v5, 1, v1
	v_cmp_le_u32_e32 vcc, s21, v4
	v_cndmask_b32_e32 v6, v1, v5, vcc
	v_mov_b32_e32 v7, v0
.LBB11_16:                              ;   in Loop: Header=BB11_12 Depth=1
	s_or_b64 exec, exec, s[4:5]
	v_mul_lo_u32 v1, v7, s21
	v_mul_lo_u32 v7, v6, s12
	v_mad_u64_u32 v[4:5], s[4:5], v6, s21, 0
	v_add3_u32 v1, v5, v7, v1
	v_sub_co_u32_e32 v4, vcc, v2, v4
	v_subb_co_u32_e32 v1, vcc, v3, v1, vcc
	v_mul_lo_u32 v1, v1, s59
	v_mul_lo_u32 v7, v4, s58
	v_mad_u64_u32 v[4:5], s[4:5], v4, s59, 0
	v_add3_u32 v5, v5, v7, v1
	v_or_b32_e32 v1, s12, v5
	v_cmp_ne_u64_e32 vcc, 0, v[0:1]
                                        ; implicit-def: $vgpr8_vgpr9
	s_and_saveexec_b64 s[4:5], vcc
	s_xor_b64 s[6:7], exec, s[4:5]
	s_cbranch_execz .LBB11_18
; %bb.17:                               ;   in Loop: Header=BB11_12 Depth=1
	s_add_u32 s4, s21, s12
	s_mov_b32 s8, s12
	s_mov_b32 s9, s12
	s_addc_u32 s5, s12, s12
	s_xor_b64 s[30:31], s[4:5], s[8:9]
	v_cvt_f32_u32_e32 v1, s30
	v_cvt_f32_u32_e32 v7, s31
	s_sub_u32 s4, 0, s30
	s_subb_u32 s5, 0, s31
	v_mac_f32_e32 v1, 0x4f800000, v7
	v_rcp_f32_e32 v1, v1
	v_mul_f32_e32 v1, 0x5f7ffffc, v1
	v_mul_f32_e32 v7, 0x2f800000, v1
	v_trunc_f32_e32 v7, v7
	v_mac_f32_e32 v1, 0xcf800000, v7
	v_cvt_u32_f32_e32 v7, v7
	v_cvt_u32_f32_e32 v1, v1
	v_mul_lo_u32 v8, s4, v7
	v_mul_hi_u32 v10, s4, v1
	v_mul_lo_u32 v9, s5, v1
	v_add_u32_e32 v8, v10, v8
	v_mul_lo_u32 v11, s4, v1
	v_add_u32_e32 v8, v8, v9
	v_mul_lo_u32 v10, v1, v8
	v_mul_hi_u32 v12, v1, v11
	v_mul_hi_u32 v9, v1, v8
	v_add_co_u32_e32 v10, vcc, v12, v10
	v_addc_co_u32_e32 v9, vcc, 0, v9, vcc
	v_mul_hi_u32 v13, v7, v11
	v_mul_lo_u32 v11, v7, v11
	v_add_co_u32_e32 v10, vcc, v10, v11
	v_mul_hi_u32 v12, v7, v8
	v_addc_co_u32_e32 v9, vcc, v9, v13, vcc
	v_addc_co_u32_e32 v10, vcc, 0, v12, vcc
	v_mul_lo_u32 v8, v7, v8
	v_add_co_u32_e32 v8, vcc, v9, v8
	v_addc_co_u32_e32 v9, vcc, 0, v10, vcc
	v_add_co_u32_e32 v1, vcc, v1, v8
	v_addc_co_u32_e32 v7, vcc, v7, v9, vcc
	v_mul_lo_u32 v8, s4, v7
	v_mul_hi_u32 v9, s4, v1
	v_add_u32_e32 v8, v9, v8
	v_mul_lo_u32 v9, s5, v1
	v_add_u32_e32 v8, v8, v9
	v_mul_lo_u32 v10, s4, v1
	v_mul_hi_u32 v11, v7, v10
	v_mul_lo_u32 v12, v7, v10
	v_mul_lo_u32 v14, v1, v8
	v_mul_hi_u32 v10, v1, v10
	v_mul_hi_u32 v13, v1, v8
	v_add_co_u32_e32 v10, vcc, v10, v14
	v_addc_co_u32_e32 v13, vcc, 0, v13, vcc
	v_add_co_u32_e32 v10, vcc, v10, v12
	v_mul_hi_u32 v9, v7, v8
	v_addc_co_u32_e32 v10, vcc, v13, v11, vcc
	v_addc_co_u32_e32 v9, vcc, 0, v9, vcc
	v_mul_lo_u32 v8, v7, v8
	v_add_co_u32_e32 v8, vcc, v10, v8
	v_addc_co_u32_e32 v9, vcc, 0, v9, vcc
	v_add_co_u32_e32 v1, vcc, v1, v8
	v_addc_co_u32_e32 v7, vcc, v7, v9, vcc
	v_ashrrev_i32_e32 v10, 31, v5
	v_add_co_u32_e32 v4, vcc, v4, v10
	v_addc_co_u32_e32 v5, vcc, v5, v10, vcc
	v_xor_b32_e32 v12, v4, v10
	v_xor_b32_e32 v11, v5, v10
	v_mad_u64_u32 v[4:5], s[4:5], v12, v7, 0
	v_mul_hi_u32 v8, v12, v1
	v_add_co_u32_e32 v13, vcc, v8, v4
	v_addc_co_u32_e32 v14, vcc, 0, v5, vcc
	v_mad_u64_u32 v[8:9], s[4:5], v11, v1, 0
	v_add_co_u32_e32 v1, vcc, v13, v8
	v_mad_u64_u32 v[4:5], s[4:5], v11, v7, 0
	v_addc_co_u32_e32 v1, vcc, v14, v9, vcc
	v_addc_co_u32_e32 v5, vcc, 0, v5, vcc
	v_add_co_u32_e32 v1, vcc, v1, v4
	v_addc_co_u32_e32 v4, vcc, 0, v5, vcc
	v_mul_lo_u32 v7, s31, v1
	v_mul_lo_u32 v8, s30, v4
	v_mad_u64_u32 v[4:5], s[4:5], s30, v1, 0
	v_add3_u32 v5, v5, v8, v7
	v_sub_u32_e32 v7, v11, v5
	v_mov_b32_e32 v8, s31
	v_sub_co_u32_e32 v4, vcc, v12, v4
	v_subb_co_u32_e64 v7, s[4:5], v7, v8, vcc
	v_subrev_co_u32_e64 v8, s[4:5], s30, v4
	v_subbrev_co_u32_e64 v7, s[4:5], 0, v7, s[4:5]
	v_cmp_le_u32_e64 s[4:5], s31, v7
	v_subb_co_u32_e32 v5, vcc, v11, v5, vcc
	v_cndmask_b32_e64 v9, 0, -1, s[4:5]
	v_cmp_le_u32_e64 s[4:5], s30, v8
	v_cmp_le_u32_e32 vcc, s31, v5
	v_cndmask_b32_e64 v8, 0, -1, s[4:5]
	v_cmp_eq_u32_e64 s[4:5], s31, v7
	v_cndmask_b32_e64 v11, 0, -1, vcc
	v_cmp_le_u32_e32 vcc, s30, v4
	v_cndmask_b32_e64 v7, v9, v8, s[4:5]
	v_cndmask_b32_e64 v4, 0, -1, vcc
	v_cmp_eq_u32_e32 vcc, s31, v5
	v_add_co_u32_e64 v8, s[4:5], 2, v1
	v_add_co_u32_e64 v9, s[4:5], 1, v1
	v_cndmask_b32_e32 v4, v11, v4, vcc
	v_cmp_ne_u32_e32 vcc, 0, v7
	v_cndmask_b32_e32 v5, v9, v8, vcc
	v_cmp_ne_u32_e32 vcc, 0, v4
	v_cndmask_b32_e32 v1, v1, v5, vcc
	v_xor_b32_e32 v4, s8, v10
	v_xor_b32_e32 v1, v1, v4
	v_sub_co_u32_e32 v8, vcc, v1, v4
                                        ; implicit-def: $vgpr4_vgpr5
.LBB11_18:                              ;   in Loop: Header=BB11_12 Depth=1
	s_andn2_saveexec_b64 s[4:5], s[6:7]
; %bb.19:                               ;   in Loop: Header=BB11_12 Depth=1
	v_mul_hi_u32 v1, v4, v41
	v_mul_lo_u32 v5, v1, s21
	v_sub_u32_e32 v4, v4, v5
	v_subrev_u32_e32 v5, s21, v4
	v_cmp_le_u32_e32 vcc, s21, v4
	v_cndmask_b32_e32 v4, v4, v5, vcc
	v_add_u32_e32 v5, 1, v1
	v_cndmask_b32_e32 v1, v1, v5, vcc
	v_add_u32_e32 v5, 1, v1
	v_cmp_le_u32_e32 vcc, s21, v4
	v_cndmask_b32_e32 v8, v1, v5, vcc
; %bb.20:                               ;   in Loop: Header=BB11_12 Depth=1
	s_or_b64 exec, exec, s[4:5]
	v_add_co_u32_e32 v1, vcc, 1, v2
	v_addc_co_u32_e32 v3, vcc, 0, v3, vcc
	v_mul_lo_u32 v7, v1, s58
	v_mul_lo_u32 v3, v3, s59
	v_mad_u64_u32 v[4:5], s[4:5], v1, s59, -1
	v_add3_u32 v5, v3, v5, v7
	v_or_b32_e32 v1, s12, v5
	v_cmp_ne_u64_e32 vcc, 0, v[0:1]
                                        ; implicit-def: $vgpr10_vgpr11
	s_and_saveexec_b64 s[4:5], vcc
	s_xor_b64 s[6:7], exec, s[4:5]
	s_cbranch_execnz .LBB11_23
; %bb.21:                               ;   in Loop: Header=BB11_12 Depth=1
	s_andn2_saveexec_b64 s[4:5], s[6:7]
	s_cbranch_execnz .LBB11_24
.LBB11_22:                              ;   in Loop: Header=BB11_12 Depth=1
	s_or_b64 exec, exec, s[4:5]
	s_and_saveexec_b64 s[30:31], s[0:1]
	s_cbranch_execz .LBB11_11
	s_branch .LBB11_25
.LBB11_23:                              ;   in Loop: Header=BB11_12 Depth=1
	s_add_u32 s4, s21, s12
	s_mov_b32 s8, s12
	s_mov_b32 s9, s12
	s_addc_u32 s5, s12, s12
	s_xor_b64 s[30:31], s[4:5], s[8:9]
	v_cvt_f32_u32_e32 v1, s30
	v_cvt_f32_u32_e32 v3, s31
	s_sub_u32 s4, 0, s30
	s_subb_u32 s5, 0, s31
	v_mac_f32_e32 v1, 0x4f800000, v3
	v_rcp_f32_e32 v1, v1
	v_mul_f32_e32 v1, 0x5f7ffffc, v1
	v_mul_f32_e32 v3, 0x2f800000, v1
	v_trunc_f32_e32 v3, v3
	v_mac_f32_e32 v1, 0xcf800000, v3
	v_cvt_u32_f32_e32 v3, v3
	v_cvt_u32_f32_e32 v1, v1
	v_mul_lo_u32 v7, s4, v3
	v_mul_hi_u32 v10, s4, v1
	v_mul_lo_u32 v9, s5, v1
	v_add_u32_e32 v7, v10, v7
	v_mul_lo_u32 v11, s4, v1
	v_add_u32_e32 v7, v7, v9
	v_mul_lo_u32 v10, v1, v7
	v_mul_hi_u32 v12, v1, v11
	v_mul_hi_u32 v9, v1, v7
	v_add_co_u32_e32 v10, vcc, v12, v10
	v_addc_co_u32_e32 v9, vcc, 0, v9, vcc
	v_mul_hi_u32 v13, v3, v11
	v_mul_lo_u32 v11, v3, v11
	v_add_co_u32_e32 v10, vcc, v10, v11
	v_mul_hi_u32 v12, v3, v7
	v_addc_co_u32_e32 v9, vcc, v9, v13, vcc
	v_addc_co_u32_e32 v10, vcc, 0, v12, vcc
	v_mul_lo_u32 v7, v3, v7
	v_add_co_u32_e32 v7, vcc, v9, v7
	v_addc_co_u32_e32 v9, vcc, 0, v10, vcc
	v_add_co_u32_e32 v1, vcc, v1, v7
	v_addc_co_u32_e32 v3, vcc, v3, v9, vcc
	v_mul_lo_u32 v7, s4, v3
	v_mul_hi_u32 v9, s4, v1
	v_add_u32_e32 v7, v9, v7
	v_mul_lo_u32 v9, s5, v1
	v_add_u32_e32 v7, v7, v9
	v_mul_lo_u32 v10, s4, v1
	v_mul_hi_u32 v11, v3, v10
	v_mul_lo_u32 v12, v3, v10
	v_mul_lo_u32 v14, v1, v7
	v_mul_hi_u32 v10, v1, v10
	v_mul_hi_u32 v13, v1, v7
	v_add_co_u32_e32 v10, vcc, v10, v14
	v_addc_co_u32_e32 v13, vcc, 0, v13, vcc
	v_add_co_u32_e32 v10, vcc, v10, v12
	v_mul_hi_u32 v9, v3, v7
	v_addc_co_u32_e32 v10, vcc, v13, v11, vcc
	v_addc_co_u32_e32 v9, vcc, 0, v9, vcc
	v_mul_lo_u32 v7, v3, v7
	v_add_co_u32_e32 v7, vcc, v10, v7
	v_addc_co_u32_e32 v9, vcc, 0, v9, vcc
	v_add_co_u32_e32 v1, vcc, v1, v7
	v_addc_co_u32_e32 v3, vcc, v3, v9, vcc
	v_ashrrev_i32_e32 v7, 31, v5
	v_add_co_u32_e32 v4, vcc, v4, v7
	v_addc_co_u32_e32 v5, vcc, v5, v7, vcc
	v_xor_b32_e32 v12, v4, v7
	v_xor_b32_e32 v9, v5, v7
	v_mad_u64_u32 v[4:5], s[4:5], v12, v3, 0
	v_mul_hi_u32 v10, v12, v1
	v_add_co_u32_e32 v13, vcc, v10, v4
	v_addc_co_u32_e32 v14, vcc, 0, v5, vcc
	v_mad_u64_u32 v[10:11], s[4:5], v9, v1, 0
	v_add_co_u32_e32 v1, vcc, v13, v10
	v_mad_u64_u32 v[4:5], s[4:5], v9, v3, 0
	v_addc_co_u32_e32 v1, vcc, v14, v11, vcc
	v_addc_co_u32_e32 v3, vcc, 0, v5, vcc
	v_add_co_u32_e32 v1, vcc, v1, v4
	v_addc_co_u32_e32 v3, vcc, 0, v3, vcc
	v_mul_lo_u32 v10, s31, v1
	v_mul_lo_u32 v3, s30, v3
	v_mad_u64_u32 v[4:5], s[4:5], s30, v1, 0
	v_add3_u32 v3, v5, v3, v10
	v_sub_u32_e32 v5, v9, v3
	v_mov_b32_e32 v10, s31
	v_sub_co_u32_e32 v4, vcc, v12, v4
	v_subb_co_u32_e64 v5, s[4:5], v5, v10, vcc
	v_subrev_co_u32_e64 v10, s[4:5], s30, v4
	v_subbrev_co_u32_e64 v5, s[4:5], 0, v5, s[4:5]
	v_cmp_le_u32_e64 s[4:5], s31, v5
	v_subb_co_u32_e32 v3, vcc, v9, v3, vcc
	v_cndmask_b32_e64 v11, 0, -1, s[4:5]
	v_cmp_le_u32_e64 s[4:5], s30, v10
	v_cmp_le_u32_e32 vcc, s31, v3
	v_cndmask_b32_e64 v10, 0, -1, s[4:5]
	v_cmp_eq_u32_e64 s[4:5], s31, v5
	v_cndmask_b32_e64 v9, 0, -1, vcc
	v_cmp_le_u32_e32 vcc, s30, v4
	v_cndmask_b32_e64 v5, v11, v10, s[4:5]
	v_cndmask_b32_e64 v4, 0, -1, vcc
	v_cmp_eq_u32_e32 vcc, s31, v3
	v_add_co_u32_e64 v10, s[4:5], 2, v1
	v_add_co_u32_e64 v11, s[4:5], 1, v1
	v_cndmask_b32_e32 v3, v9, v4, vcc
	v_cmp_ne_u32_e32 vcc, 0, v5
	v_cndmask_b32_e32 v4, v11, v10, vcc
	v_cmp_ne_u32_e32 vcc, 0, v3
	v_cndmask_b32_e32 v1, v1, v4, vcc
	v_xor_b32_e32 v3, s8, v7
	v_xor_b32_e32 v1, v1, v3
	v_sub_co_u32_e32 v10, vcc, v1, v3
                                        ; implicit-def: $vgpr4_vgpr5
	s_andn2_saveexec_b64 s[4:5], s[6:7]
	s_cbranch_execz .LBB11_22
.LBB11_24:                              ;   in Loop: Header=BB11_12 Depth=1
	v_mul_hi_u32 v1, v4, v41
	v_mul_lo_u32 v3, v1, s21
	v_sub_u32_e32 v3, v4, v3
	v_subrev_u32_e32 v4, s21, v3
	v_cmp_le_u32_e32 vcc, s21, v3
	v_cndmask_b32_e32 v3, v3, v4, vcc
	v_add_u32_e32 v4, 1, v1
	v_cndmask_b32_e32 v1, v1, v4, vcc
	v_add_u32_e32 v4, 1, v1
	v_cmp_le_u32_e32 vcc, s21, v3
	v_cndmask_b32_e32 v10, v1, v4, vcc
	s_or_b64 exec, exec, s[4:5]
	s_and_saveexec_b64 s[30:31], s[0:1]
	s_cbranch_execz .LBB11_11
.LBB11_25:                              ;   in Loop: Header=BB11_12 Depth=1
	v_add_u32_e32 v44, 1, v10
	v_mul_lo_u32 v10, v2, s14
	v_ashrrev_i32_e32 v11, 31, v10
	v_mad_u64_u32 v[4:5], s[4:5], v6, s59, v[8:9]
	v_lshlrev_b64 v[10:11], 1, v[10:11]
	v_mov_b32_e32 v1, s56
	v_add_co_u32_e32 v5, vcc, s55, v10
	v_addc_co_u32_e32 v45, vcc, v1, v11, vcc
	v_cmp_gt_i32_e64 s[4:5], v44, v4
	v_mad_u64_u32 v[6:7], s[6:7], s16, v6, v[8:9]
	s_mov_b64 s[34:35], 0
	v_mov_b32_e32 v8, v39
	s_branch .LBB11_27
.LBB11_26:                              ;   in Loop: Header=BB11_27 Depth=2
	v_add_u32_e32 v8, s57, v8
	v_cmp_le_i32_e32 vcc, s14, v8
	s_or_b64 s[34:35], vcc, s[34:35]
	s_andn2_b64 exec, exec, s[34:35]
	s_cbranch_execz .LBB11_11
.LBB11_27:                              ;   Parent Loop BB11_12 Depth=1
                                        ; =>  This Loop Header: Depth=2
                                        ;       Child Loop BB11_42 Depth 3
                                        ;         Child Loop BB11_54 Depth 4
                                        ;           Child Loop BB11_69 Depth 5
	v_or_b32_e64 v1, 0, s33
	v_mov_b32_e32 v9, v0
	v_cmp_ne_u64_e32 vcc, 0, v[0:1]
                                        ; implicit-def: $vgpr14_vgpr15
	s_and_saveexec_b64 s[6:7], vcc
	s_xor_b64 s[8:9], exec, s[6:7]
	s_cbranch_execz .LBB11_29
; %bb.28:                               ;   in Loop: Header=BB11_27 Depth=2
	s_add_u32 s6, s54, s33
	s_mov_b32 s36, s33
	s_mov_b32 s37, s33
	s_addc_u32 s7, s33, s33
	s_xor_b64 s[38:39], s[6:7], s[36:37]
	v_cvt_f32_u32_e32 v1, s38
	v_cvt_f32_u32_e32 v3, s39
	s_sub_u32 s6, 0, s38
	s_subb_u32 s7, 0, s39
	v_mac_f32_e32 v1, 0x4f800000, v3
	v_rcp_f32_e32 v1, v1
	v_mul_f32_e32 v1, 0x5f7ffffc, v1
	v_mul_f32_e32 v3, 0x2f800000, v1
	v_trunc_f32_e32 v3, v3
	v_mac_f32_e32 v1, 0xcf800000, v3
	v_cvt_u32_f32_e32 v3, v3
	v_cvt_u32_f32_e32 v1, v1
	v_mul_lo_u32 v7, s6, v3
	v_mul_hi_u32 v11, s6, v1
	v_mul_lo_u32 v10, s7, v1
	v_add_u32_e32 v7, v11, v7
	v_mul_lo_u32 v12, s6, v1
	v_add_u32_e32 v7, v7, v10
	v_mul_lo_u32 v11, v1, v7
	v_mul_hi_u32 v13, v1, v12
	v_mul_hi_u32 v10, v1, v7
	v_add_co_u32_e32 v11, vcc, v13, v11
	v_addc_co_u32_e32 v10, vcc, 0, v10, vcc
	v_mul_hi_u32 v14, v3, v12
	v_mul_lo_u32 v12, v3, v12
	v_add_co_u32_e32 v11, vcc, v11, v12
	v_mul_hi_u32 v13, v3, v7
	v_addc_co_u32_e32 v10, vcc, v10, v14, vcc
	v_addc_co_u32_e32 v11, vcc, 0, v13, vcc
	v_mul_lo_u32 v7, v3, v7
	v_add_co_u32_e32 v7, vcc, v10, v7
	v_addc_co_u32_e32 v10, vcc, 0, v11, vcc
	v_add_co_u32_e32 v1, vcc, v1, v7
	v_addc_co_u32_e32 v3, vcc, v3, v10, vcc
	v_mul_lo_u32 v7, s6, v3
	v_mul_hi_u32 v10, s6, v1
	v_add_u32_e32 v7, v10, v7
	v_mul_lo_u32 v10, s7, v1
	v_add_u32_e32 v7, v7, v10
	v_mul_lo_u32 v11, s6, v1
	v_mul_hi_u32 v12, v3, v11
	v_mul_lo_u32 v13, v3, v11
	v_mul_lo_u32 v15, v1, v7
	v_mul_hi_u32 v11, v1, v11
	v_mul_hi_u32 v14, v1, v7
	v_add_co_u32_e32 v11, vcc, v11, v15
	v_addc_co_u32_e32 v14, vcc, 0, v14, vcc
	v_add_co_u32_e32 v11, vcc, v11, v13
	v_mul_hi_u32 v10, v3, v7
	v_addc_co_u32_e32 v11, vcc, v14, v12, vcc
	v_addc_co_u32_e32 v10, vcc, 0, v10, vcc
	v_mul_lo_u32 v7, v3, v7
	v_add_co_u32_e32 v7, vcc, v11, v7
	v_addc_co_u32_e32 v10, vcc, 0, v10, vcc
	v_add_co_u32_e32 v1, vcc, v1, v7
	v_addc_co_u32_e32 v3, vcc, v3, v10, vcc
	v_ashrrev_i32_e64 v7, 31, 0
	v_add_co_u32_e32 v10, vcc, v8, v7
	v_addc_co_u32_e32 v11, vcc, 0, v7, vcc
	v_xor_b32_e32 v15, v10, v7
	v_xor_b32_e32 v14, v11, v7
	v_mad_u64_u32 v[10:11], s[6:7], v15, v3, 0
	v_mul_hi_u32 v12, v15, v1
	v_add_co_u32_e32 v16, vcc, v12, v10
	v_addc_co_u32_e32 v17, vcc, 0, v11, vcc
	v_mad_u64_u32 v[12:13], s[6:7], v14, v1, 0
	v_add_co_u32_e32 v1, vcc, v16, v12
	v_mad_u64_u32 v[10:11], s[6:7], v14, v3, 0
	v_addc_co_u32_e32 v1, vcc, v17, v13, vcc
	v_addc_co_u32_e32 v3, vcc, 0, v11, vcc
	v_add_co_u32_e32 v1, vcc, v1, v10
	v_addc_co_u32_e32 v3, vcc, 0, v3, vcc
	v_mul_lo_u32 v12, s39, v1
	v_mul_lo_u32 v13, s38, v3
	v_mad_u64_u32 v[10:11], s[6:7], s38, v1, 0
	v_add3_u32 v11, v11, v13, v12
	v_sub_u32_e32 v12, v14, v11
	v_mov_b32_e32 v13, s39
	v_sub_co_u32_e32 v10, vcc, v15, v10
	v_subb_co_u32_e64 v12, s[6:7], v12, v13, vcc
	v_subrev_co_u32_e64 v13, s[6:7], s38, v10
	v_subbrev_co_u32_e64 v12, s[6:7], 0, v12, s[6:7]
	v_cmp_le_u32_e64 s[6:7], s39, v12
	v_cndmask_b32_e64 v15, 0, -1, s[6:7]
	v_cmp_le_u32_e64 s[6:7], s38, v13
	v_cndmask_b32_e64 v13, 0, -1, s[6:7]
	v_cmp_eq_u32_e64 s[6:7], s39, v12
	v_cndmask_b32_e64 v12, v15, v13, s[6:7]
	v_add_co_u32_e64 v13, s[6:7], 2, v1
	v_subb_co_u32_e32 v11, vcc, v14, v11, vcc
	v_addc_co_u32_e64 v15, s[6:7], 0, v3, s[6:7]
	v_cmp_le_u32_e32 vcc, s39, v11
	v_add_co_u32_e64 v16, s[6:7], 1, v1
	v_cndmask_b32_e64 v14, 0, -1, vcc
	v_cmp_le_u32_e32 vcc, s38, v10
	v_addc_co_u32_e64 v17, s[6:7], 0, v3, s[6:7]
	v_cndmask_b32_e64 v10, 0, -1, vcc
	v_cmp_eq_u32_e32 vcc, s39, v11
	v_cmp_ne_u32_e64 s[6:7], 0, v12
	v_cndmask_b32_e32 v10, v14, v10, vcc
	v_cmp_ne_u32_e32 vcc, 0, v10
	v_cndmask_b32_e64 v10, v16, v13, s[6:7]
	v_cndmask_b32_e64 v12, v17, v15, s[6:7]
	v_cndmask_b32_e32 v1, v1, v10, vcc
	v_xor_b32_e32 v10, s37, v7
	v_xor_b32_e32 v7, s36, v7
	v_cndmask_b32_e32 v3, v3, v12, vcc
	v_xor_b32_e32 v1, v1, v7
	v_xor_b32_e32 v3, v3, v10
	v_sub_co_u32_e32 v14, vcc, v1, v7
	v_subb_co_u32_e32 v15, vcc, v3, v10, vcc
.LBB11_29:                              ;   in Loop: Header=BB11_27 Depth=2
	s_or_saveexec_b64 s[6:7], s[8:9]
	v_cvt_f32_u32_e32 v3, s54
	s_xor_b64 exec, exec, s[6:7]
	s_cbranch_execz .LBB11_31
; %bb.30:                               ;   in Loop: Header=BB11_27 Depth=2
	v_rcp_iflag_f32_e32 v1, v3
	s_sub_i32 s8, 0, s54
	v_mov_b32_e32 v15, v0
	v_mul_f32_e32 v1, 0x4f7ffffe, v1
	v_cvt_u32_f32_e32 v1, v1
	v_mul_lo_u32 v7, s8, v1
	v_mul_hi_u32 v7, v1, v7
	v_add_u32_e32 v1, v1, v7
	v_mul_hi_u32 v1, v8, v1
	v_mul_lo_u32 v7, v1, s54
	v_sub_u32_e32 v7, v8, v7
	v_add_u32_e32 v10, 1, v1
	v_subrev_u32_e32 v11, s54, v7
	v_cmp_le_u32_e32 vcc, s54, v7
	v_cndmask_b32_e32 v7, v7, v11, vcc
	v_cndmask_b32_e32 v1, v1, v10, vcc
	v_add_u32_e32 v10, 1, v1
	v_cmp_le_u32_e32 vcc, s54, v7
	v_cndmask_b32_e32 v14, v1, v10, vcc
.LBB11_31:                              ;   in Loop: Header=BB11_27 Depth=2
	s_or_b64 exec, exec, s[6:7]
	v_mul_lo_u32 v1, v15, s54
	v_mul_lo_u32 v7, v14, s33
	v_mad_u64_u32 v[10:11], s[6:7], v14, s54, 0
	v_add3_u32 v1, v11, v7, v1
	v_sub_co_u32_e32 v7, vcc, v8, v10
	v_subb_co_u32_e32 v1, vcc, 0, v1, vcc
	v_mul_lo_u32 v1, v1, s61
	v_mul_lo_u32 v12, v7, s60
	v_mad_u64_u32 v[10:11], s[6:7], v7, s61, 0
	v_add3_u32 v11, v11, v12, v1
	v_or_b32_e32 v1, s33, v11
	v_cmp_ne_u64_e32 vcc, 0, v[0:1]
                                        ; implicit-def: $vgpr16_vgpr17
	s_and_saveexec_b64 s[6:7], vcc
	s_xor_b64 s[8:9], exec, s[6:7]
	s_cbranch_execz .LBB11_33
; %bb.32:                               ;   in Loop: Header=BB11_27 Depth=2
	s_add_u32 s6, s54, s33
	s_mov_b32 s36, s33
	s_mov_b32 s37, s33
	s_addc_u32 s7, s33, s33
	s_xor_b64 s[38:39], s[6:7], s[36:37]
	v_cvt_f32_u32_e32 v1, s38
	v_cvt_f32_u32_e32 v7, s39
	s_sub_u32 s6, 0, s38
	s_subb_u32 s7, 0, s39
	v_mac_f32_e32 v1, 0x4f800000, v7
	v_rcp_f32_e32 v1, v1
	v_mul_f32_e32 v1, 0x5f7ffffc, v1
	v_mul_f32_e32 v7, 0x2f800000, v1
	v_trunc_f32_e32 v7, v7
	v_mac_f32_e32 v1, 0xcf800000, v7
	v_cvt_u32_f32_e32 v7, v7
	v_cvt_u32_f32_e32 v1, v1
	v_mul_lo_u32 v12, s6, v7
	v_mul_hi_u32 v15, s6, v1
	v_mul_lo_u32 v13, s7, v1
	v_add_u32_e32 v12, v15, v12
	v_mul_lo_u32 v16, s6, v1
	v_add_u32_e32 v12, v12, v13
	v_mul_lo_u32 v15, v1, v12
	v_mul_hi_u32 v17, v1, v16
	v_mul_hi_u32 v13, v1, v12
	v_add_co_u32_e32 v15, vcc, v17, v15
	v_addc_co_u32_e32 v13, vcc, 0, v13, vcc
	v_mul_hi_u32 v18, v7, v16
	v_mul_lo_u32 v16, v7, v16
	v_add_co_u32_e32 v15, vcc, v15, v16
	v_mul_hi_u32 v17, v7, v12
	v_addc_co_u32_e32 v13, vcc, v13, v18, vcc
	v_addc_co_u32_e32 v15, vcc, 0, v17, vcc
	v_mul_lo_u32 v12, v7, v12
	v_add_co_u32_e32 v12, vcc, v13, v12
	v_addc_co_u32_e32 v13, vcc, 0, v15, vcc
	v_add_co_u32_e32 v1, vcc, v1, v12
	v_addc_co_u32_e32 v7, vcc, v7, v13, vcc
	v_mul_lo_u32 v12, s6, v7
	v_mul_hi_u32 v13, s6, v1
	v_add_u32_e32 v12, v13, v12
	v_mul_lo_u32 v13, s7, v1
	v_add_u32_e32 v12, v12, v13
	v_mul_lo_u32 v15, s6, v1
	v_mul_hi_u32 v16, v7, v15
	v_mul_lo_u32 v17, v7, v15
	v_mul_lo_u32 v19, v1, v12
	v_mul_hi_u32 v15, v1, v15
	v_mul_hi_u32 v18, v1, v12
	v_add_co_u32_e32 v15, vcc, v15, v19
	v_addc_co_u32_e32 v18, vcc, 0, v18, vcc
	v_add_co_u32_e32 v15, vcc, v15, v17
	v_mul_hi_u32 v13, v7, v12
	v_addc_co_u32_e32 v15, vcc, v18, v16, vcc
	v_addc_co_u32_e32 v13, vcc, 0, v13, vcc
	v_mul_lo_u32 v12, v7, v12
	v_add_co_u32_e32 v12, vcc, v15, v12
	v_addc_co_u32_e32 v13, vcc, 0, v13, vcc
	v_add_co_u32_e32 v1, vcc, v1, v12
	v_addc_co_u32_e32 v7, vcc, v7, v13, vcc
	v_ashrrev_i32_e32 v15, 31, v11
	v_add_co_u32_e32 v10, vcc, v10, v15
	v_addc_co_u32_e32 v11, vcc, v11, v15, vcc
	v_xor_b32_e32 v17, v10, v15
	v_xor_b32_e32 v16, v11, v15
	v_mad_u64_u32 v[10:11], s[6:7], v17, v7, 0
	v_mul_hi_u32 v12, v17, v1
	v_add_co_u32_e32 v18, vcc, v12, v10
	v_addc_co_u32_e32 v19, vcc, 0, v11, vcc
	v_mad_u64_u32 v[12:13], s[6:7], v16, v1, 0
	v_add_co_u32_e32 v1, vcc, v18, v12
	v_mad_u64_u32 v[10:11], s[6:7], v16, v7, 0
	v_addc_co_u32_e32 v1, vcc, v19, v13, vcc
	v_addc_co_u32_e32 v7, vcc, 0, v11, vcc
	v_add_co_u32_e32 v1, vcc, v1, v10
	v_addc_co_u32_e32 v7, vcc, 0, v7, vcc
	v_mul_lo_u32 v12, s39, v1
	v_mul_lo_u32 v7, s38, v7
	v_mad_u64_u32 v[10:11], s[6:7], s38, v1, 0
	v_add3_u32 v7, v11, v7, v12
	v_sub_u32_e32 v11, v16, v7
	v_mov_b32_e32 v12, s39
	v_sub_co_u32_e32 v10, vcc, v17, v10
	v_subb_co_u32_e64 v11, s[6:7], v11, v12, vcc
	v_subrev_co_u32_e64 v12, s[6:7], s38, v10
	v_subbrev_co_u32_e64 v11, s[6:7], 0, v11, s[6:7]
	v_cmp_le_u32_e64 s[6:7], s39, v11
	v_subb_co_u32_e32 v7, vcc, v16, v7, vcc
	v_cndmask_b32_e64 v13, 0, -1, s[6:7]
	v_cmp_le_u32_e64 s[6:7], s38, v12
	v_cmp_le_u32_e32 vcc, s39, v7
	v_cndmask_b32_e64 v12, 0, -1, s[6:7]
	v_cmp_eq_u32_e64 s[6:7], s39, v11
	v_cndmask_b32_e64 v16, 0, -1, vcc
	v_cmp_le_u32_e32 vcc, s38, v10
	v_cndmask_b32_e64 v11, v13, v12, s[6:7]
	v_cndmask_b32_e64 v10, 0, -1, vcc
	v_cmp_eq_u32_e32 vcc, s39, v7
	v_add_co_u32_e64 v12, s[6:7], 2, v1
	v_add_co_u32_e64 v13, s[6:7], 1, v1
	v_cndmask_b32_e32 v7, v16, v10, vcc
	v_cmp_ne_u32_e32 vcc, 0, v11
	v_cndmask_b32_e32 v10, v13, v12, vcc
	v_cmp_ne_u32_e32 vcc, 0, v7
	v_cndmask_b32_e32 v1, v1, v10, vcc
	v_xor_b32_e32 v7, s36, v15
	v_xor_b32_e32 v1, v1, v7
	v_sub_co_u32_e32 v16, vcc, v1, v7
                                        ; implicit-def: $vgpr10_vgpr11
.LBB11_33:                              ;   in Loop: Header=BB11_27 Depth=2
	s_andn2_saveexec_b64 s[6:7], s[8:9]
	s_cbranch_execz .LBB11_35
; %bb.34:                               ;   in Loop: Header=BB11_27 Depth=2
	v_rcp_iflag_f32_e32 v1, v3
	s_sub_i32 s8, 0, s54
	v_mul_f32_e32 v1, 0x4f7ffffe, v1
	v_cvt_u32_f32_e32 v1, v1
	v_mul_lo_u32 v7, s8, v1
	v_mul_hi_u32 v7, v1, v7
	v_add_u32_e32 v1, v1, v7
	v_mul_hi_u32 v1, v10, v1
	v_mul_lo_u32 v7, v1, s54
	v_sub_u32_e32 v7, v10, v7
	v_add_u32_e32 v11, 1, v1
	v_subrev_u32_e32 v10, s54, v7
	v_cmp_le_u32_e32 vcc, s54, v7
	v_cndmask_b32_e32 v7, v7, v10, vcc
	v_cndmask_b32_e32 v1, v1, v11, vcc
	v_add_u32_e32 v10, 1, v1
	v_cmp_le_u32_e32 vcc, s54, v7
	v_cndmask_b32_e32 v16, v1, v10, vcc
.LBB11_35:                              ;   in Loop: Header=BB11_27 Depth=2
	s_or_b64 exec, exec, s[6:7]
	v_add_co_u32_e32 v1, vcc, 1, v8
	v_addc_co_u32_e64 v7, s[6:7], 0, 0, vcc
	v_mul_lo_u32 v12, v1, s60
	v_mul_lo_u32 v7, v7, s61
	v_mad_u64_u32 v[10:11], s[6:7], v1, s61, -1
	v_add3_u32 v11, v7, v11, v12
	v_or_b32_e32 v1, s33, v11
	v_cmp_ne_u64_e32 vcc, 0, v[0:1]
                                        ; implicit-def: $vgpr12_vgpr13
	s_and_saveexec_b64 s[6:7], vcc
	s_xor_b64 s[8:9], exec, s[6:7]
	s_cbranch_execnz .LBB11_38
; %bb.36:                               ;   in Loop: Header=BB11_27 Depth=2
	s_andn2_saveexec_b64 s[6:7], s[8:9]
	s_cbranch_execnz .LBB11_39
.LBB11_37:                              ;   in Loop: Header=BB11_27 Depth=2
	s_or_b64 exec, exec, s[6:7]
	s_andn2_b64 vcc, exec, s[2:3]
	s_cbranch_vccnz .LBB11_26
	s_branch .LBB11_40
.LBB11_38:                              ;   in Loop: Header=BB11_27 Depth=2
	s_add_u32 s6, s54, s33
	s_mov_b32 s36, s33
	s_mov_b32 s37, s33
	s_addc_u32 s7, s33, s33
	s_xor_b64 s[38:39], s[6:7], s[36:37]
	v_cvt_f32_u32_e32 v1, s38
	v_cvt_f32_u32_e32 v3, s39
	s_sub_u32 s6, 0, s38
	s_subb_u32 s7, 0, s39
	v_mac_f32_e32 v1, 0x4f800000, v3
	v_rcp_f32_e32 v1, v1
	v_mul_f32_e32 v1, 0x5f7ffffc, v1
	v_mul_f32_e32 v3, 0x2f800000, v1
	v_trunc_f32_e32 v3, v3
	v_mac_f32_e32 v1, 0xcf800000, v3
	v_cvt_u32_f32_e32 v3, v3
	v_cvt_u32_f32_e32 v1, v1
	v_mul_lo_u32 v7, s6, v3
	v_mul_hi_u32 v13, s6, v1
	v_mul_lo_u32 v12, s7, v1
	v_add_u32_e32 v7, v13, v7
	v_mul_lo_u32 v15, s6, v1
	v_add_u32_e32 v7, v7, v12
	v_mul_lo_u32 v13, v1, v7
	v_mul_hi_u32 v17, v1, v15
	v_mul_hi_u32 v12, v1, v7
	v_add_co_u32_e32 v13, vcc, v17, v13
	v_addc_co_u32_e32 v12, vcc, 0, v12, vcc
	v_mul_hi_u32 v18, v3, v15
	v_mul_lo_u32 v15, v3, v15
	v_add_co_u32_e32 v13, vcc, v13, v15
	v_mul_hi_u32 v17, v3, v7
	v_addc_co_u32_e32 v12, vcc, v12, v18, vcc
	v_addc_co_u32_e32 v13, vcc, 0, v17, vcc
	v_mul_lo_u32 v7, v3, v7
	v_add_co_u32_e32 v7, vcc, v12, v7
	v_addc_co_u32_e32 v12, vcc, 0, v13, vcc
	v_add_co_u32_e32 v1, vcc, v1, v7
	v_addc_co_u32_e32 v3, vcc, v3, v12, vcc
	v_mul_lo_u32 v7, s6, v3
	v_mul_hi_u32 v12, s6, v1
	v_add_u32_e32 v7, v12, v7
	v_mul_lo_u32 v12, s7, v1
	v_add_u32_e32 v7, v7, v12
	v_mul_lo_u32 v13, s6, v1
	v_mul_hi_u32 v15, v3, v13
	v_mul_lo_u32 v17, v3, v13
	v_mul_lo_u32 v19, v1, v7
	v_mul_hi_u32 v13, v1, v13
	v_mul_hi_u32 v18, v1, v7
	v_add_co_u32_e32 v13, vcc, v13, v19
	v_addc_co_u32_e32 v18, vcc, 0, v18, vcc
	v_add_co_u32_e32 v13, vcc, v13, v17
	v_mul_hi_u32 v12, v3, v7
	v_addc_co_u32_e32 v13, vcc, v18, v15, vcc
	v_addc_co_u32_e32 v12, vcc, 0, v12, vcc
	v_mul_lo_u32 v7, v3, v7
	v_add_co_u32_e32 v7, vcc, v13, v7
	v_addc_co_u32_e32 v12, vcc, 0, v12, vcc
	v_add_co_u32_e32 v1, vcc, v1, v7
	v_addc_co_u32_e32 v3, vcc, v3, v12, vcc
	v_ashrrev_i32_e32 v7, 31, v11
	v_add_co_u32_e32 v10, vcc, v10, v7
	v_addc_co_u32_e32 v11, vcc, v11, v7, vcc
	v_xor_b32_e32 v17, v10, v7
	v_xor_b32_e32 v15, v11, v7
	v_mad_u64_u32 v[10:11], s[6:7], v17, v3, 0
	v_mul_hi_u32 v12, v17, v1
	v_add_co_u32_e32 v18, vcc, v12, v10
	v_addc_co_u32_e32 v19, vcc, 0, v11, vcc
	v_mad_u64_u32 v[12:13], s[6:7], v15, v1, 0
	v_add_co_u32_e32 v1, vcc, v18, v12
	v_mad_u64_u32 v[10:11], s[6:7], v15, v3, 0
	v_addc_co_u32_e32 v1, vcc, v19, v13, vcc
	v_addc_co_u32_e32 v3, vcc, 0, v11, vcc
	v_add_co_u32_e32 v1, vcc, v1, v10
	v_addc_co_u32_e32 v3, vcc, 0, v3, vcc
	v_mul_lo_u32 v12, s39, v1
	v_mul_lo_u32 v3, s38, v3
	v_mad_u64_u32 v[10:11], s[6:7], s38, v1, 0
	v_add3_u32 v3, v11, v3, v12
	v_sub_u32_e32 v11, v15, v3
	v_mov_b32_e32 v12, s39
	v_sub_co_u32_e32 v10, vcc, v17, v10
	v_subb_co_u32_e64 v11, s[6:7], v11, v12, vcc
	v_subrev_co_u32_e64 v12, s[6:7], s38, v10
	v_subbrev_co_u32_e64 v11, s[6:7], 0, v11, s[6:7]
	v_cmp_le_u32_e64 s[6:7], s39, v11
	v_subb_co_u32_e32 v3, vcc, v15, v3, vcc
	v_cndmask_b32_e64 v13, 0, -1, s[6:7]
	v_cmp_le_u32_e64 s[6:7], s38, v12
	v_cmp_le_u32_e32 vcc, s39, v3
	v_cndmask_b32_e64 v12, 0, -1, s[6:7]
	v_cmp_eq_u32_e64 s[6:7], s39, v11
	v_cndmask_b32_e64 v15, 0, -1, vcc
	v_cmp_le_u32_e32 vcc, s38, v10
	v_cndmask_b32_e64 v11, v13, v12, s[6:7]
	v_cndmask_b32_e64 v10, 0, -1, vcc
	v_cmp_eq_u32_e32 vcc, s39, v3
	v_add_co_u32_e64 v12, s[6:7], 2, v1
	v_add_co_u32_e64 v13, s[6:7], 1, v1
	v_cndmask_b32_e32 v3, v15, v10, vcc
	v_cmp_ne_u32_e32 vcc, 0, v11
	v_cndmask_b32_e32 v10, v13, v12, vcc
	v_cmp_ne_u32_e32 vcc, 0, v3
	v_cndmask_b32_e32 v1, v1, v10, vcc
	v_xor_b32_e32 v3, s36, v7
	v_xor_b32_e32 v1, v1, v3
	v_sub_co_u32_e32 v12, vcc, v1, v3
                                        ; implicit-def: $vgpr3
                                        ; implicit-def: $vgpr10_vgpr11
	s_andn2_saveexec_b64 s[6:7], s[8:9]
	s_cbranch_execz .LBB11_37
.LBB11_39:                              ;   in Loop: Header=BB11_27 Depth=2
	v_rcp_iflag_f32_e32 v1, v3
	s_sub_i32 s8, 0, s54
	v_mul_f32_e32 v1, 0x4f7ffffe, v1
	v_cvt_u32_f32_e32 v1, v1
	v_mul_lo_u32 v3, s8, v1
	v_mul_hi_u32 v3, v1, v3
	v_add_u32_e32 v1, v1, v3
	v_mul_hi_u32 v1, v10, v1
	v_mul_lo_u32 v3, v1, s54
	v_sub_u32_e32 v3, v10, v3
	v_add_u32_e32 v7, 1, v1
	v_subrev_u32_e32 v10, s54, v3
	v_cmp_le_u32_e32 vcc, s54, v3
	v_cndmask_b32_e32 v3, v3, v10, vcc
	v_cndmask_b32_e32 v1, v1, v7, vcc
	v_add_u32_e32 v7, 1, v1
	v_cmp_le_u32_e32 vcc, s54, v3
	v_cndmask_b32_e32 v12, v1, v7, vcc
	s_or_b64 exec, exec, s[6:7]
	s_andn2_b64 vcc, exec, s[2:3]
	s_cbranch_vccnz .LBB11_26
.LBB11_40:                              ;   in Loop: Header=BB11_27 Depth=2
	v_lshlrev_b64 v[10:11], 1, v[8:9]
	v_add_co_u32_e32 v10, vcc, v5, v10
	v_add_u32_e32 v7, 1, v12
	v_addc_co_u32_e32 v11, vcc, v45, v11, vcc
	v_mad_u64_u32 v[12:13], s[6:7], v14, s61, v[16:17]
	v_add_u32_e32 v1, v6, v14
	v_ashrrev_i32_e32 v13, 31, v12
	v_mad_u64_u32 v[14:15], s[8:9], s17, v1, v[16:17]
	v_add_co_u32_e32 v1, vcc, 1, v12
	v_addc_co_u32_e32 v3, vcc, 0, v13, vcc
	v_mul_lo_u32 v3, s54, v3
	v_mul_lo_u32 v9, s33, v1
	v_mad_u64_u32 v[16:17], s[8:9], s54, v1, -1
	v_cmp_gt_i32_e64 s[6:7], v7, v12
	v_add3_u32 v17, v9, v17, v3
	s_mov_b64 s[36:37], s[22:23]
	s_mov_b32 s38, s20
	s_branch .LBB11_42
.LBB11_41:                              ;   in Loop: Header=BB11_42 Depth=3
	s_or_b64 exec, exec, s[40:41]
	s_add_i32 s38, s38, 1
	s_add_u32 s36, s36, s24
	v_cmp_lt_i32_e32 vcc, s38, v38
	s_addc_u32 s37, s37, s25
	s_cbranch_vccz .LBB11_26
.LBB11_42:                              ;   Parent Loop BB11_12 Depth=1
                                        ;     Parent Loop BB11_27 Depth=2
                                        ; =>    This Loop Header: Depth=3
                                        ;         Child Loop BB11_54 Depth 4
                                        ;           Child Loop BB11_69 Depth 5
	s_ashr_i32 s39, s38, 31
	s_add_u32 s8, s38, 1
	s_addc_u32 s9, s39, 0
	s_mul_i32 s29, s8, s11
	s_mul_hi_u32 s40, s8, s10
	s_add_i32 s29, s40, s29
	s_mul_i32 s9, s9, s10
	s_add_i32 s29, s29, s9
	s_mul_i32 s8, s8, s10
	s_add_u32 s40, s8, -1
	s_addc_u32 s41, s29, -1
	s_or_b64 s[8:9], s[40:41], s[18:19]
	s_mov_b32 s29, s9
	s_cmp_lg_u64 s[28:29], 0
	s_cbranch_scc0 .LBB11_81
; %bb.43:                               ;   in Loop: Header=BB11_42 Depth=3
	s_add_u32 s8, s18, s19
	s_mov_b32 s42, s19
	s_mov_b32 s43, s19
	s_addc_u32 s9, s19, s19
	s_xor_b64 s[44:45], s[8:9], s[42:43]
	v_cvt_f32_u32_e32 v1, s44
	v_cvt_f32_u32_e32 v3, s45
	s_sub_u32 s8, 0, s44
	s_subb_u32 s9, 0, s45
	s_ashr_i32 s46, s41, 31
	v_mac_f32_e32 v1, 0x4f800000, v3
	v_rcp_f32_e32 v1, v1
	s_mov_b32 s47, s46
	v_mul_f32_e32 v1, 0x5f7ffffc, v1
	v_mul_f32_e32 v3, 0x2f800000, v1
	v_trunc_f32_e32 v3, v3
	v_mac_f32_e32 v1, 0xcf800000, v3
	v_cvt_u32_f32_e32 v3, v3
	v_cvt_u32_f32_e32 v1, v1
	v_mul_lo_u32 v9, s8, v3
	v_mul_hi_u32 v18, s8, v1
	v_mul_lo_u32 v15, s9, v1
	v_add_u32_e32 v9, v18, v9
	v_mul_lo_u32 v19, s8, v1
	v_add_u32_e32 v9, v9, v15
	v_mul_lo_u32 v18, v1, v9
	v_mul_hi_u32 v20, v1, v19
	v_mul_hi_u32 v15, v1, v9
	v_add_co_u32_e32 v18, vcc, v20, v18
	v_addc_co_u32_e32 v15, vcc, 0, v15, vcc
	v_mul_hi_u32 v21, v3, v19
	v_mul_lo_u32 v19, v3, v19
	v_add_co_u32_e32 v18, vcc, v18, v19
	v_mul_hi_u32 v20, v3, v9
	v_addc_co_u32_e32 v15, vcc, v15, v21, vcc
	v_addc_co_u32_e32 v18, vcc, 0, v20, vcc
	v_mul_lo_u32 v9, v3, v9
	v_add_co_u32_e32 v9, vcc, v15, v9
	v_addc_co_u32_e32 v15, vcc, 0, v18, vcc
	v_add_co_u32_e32 v1, vcc, v1, v9
	v_addc_co_u32_e32 v3, vcc, v3, v15, vcc
	v_mul_lo_u32 v9, s8, v3
	v_mul_hi_u32 v15, s8, v1
	v_add_u32_e32 v9, v15, v9
	v_mul_lo_u32 v15, s9, v1
	v_add_u32_e32 v9, v9, v15
	v_mul_lo_u32 v18, s8, v1
	v_mul_hi_u32 v19, v3, v18
	v_mul_lo_u32 v20, v3, v18
	v_mul_lo_u32 v22, v1, v9
	v_mul_hi_u32 v18, v1, v18
	v_mul_hi_u32 v21, v1, v9
	v_add_co_u32_e32 v18, vcc, v18, v22
	v_addc_co_u32_e32 v21, vcc, 0, v21, vcc
	v_add_co_u32_e32 v18, vcc, v18, v20
	v_mul_hi_u32 v15, v3, v9
	v_addc_co_u32_e32 v18, vcc, v21, v19, vcc
	v_addc_co_u32_e32 v15, vcc, 0, v15, vcc
	v_mul_lo_u32 v9, v3, v9
	v_add_co_u32_e32 v9, vcc, v18, v9
	v_addc_co_u32_e32 v15, vcc, 0, v15, vcc
	s_add_u32 s8, s40, s46
	v_add_co_u32_e32 v1, vcc, v1, v9
	s_addc_u32 s9, s41, s46
	v_addc_co_u32_e32 v3, vcc, v3, v15, vcc
	s_xor_b64 s[48:49], s[8:9], s[46:47]
	v_mul_lo_u32 v15, s48, v3
	v_mul_hi_u32 v18, s48, v1
	v_mul_hi_u32 v9, s48, v3
	v_add_co_u32_e32 v15, vcc, v18, v15
	v_addc_co_u32_e32 v9, vcc, 0, v9, vcc
	v_mul_hi_u32 v19, s49, v1
	v_mul_lo_u32 v1, s49, v1
	v_add_co_u32_e32 v1, vcc, v15, v1
	v_mul_hi_u32 v18, s49, v3
	v_addc_co_u32_e32 v1, vcc, v9, v19, vcc
	v_addc_co_u32_e32 v9, vcc, 0, v18, vcc
	v_mul_lo_u32 v3, s49, v3
	v_add_co_u32_e32 v1, vcc, v1, v3
	v_addc_co_u32_e32 v3, vcc, 0, v9, vcc
	v_mul_lo_u32 v3, s44, v3
	v_mul_hi_u32 v9, s44, v1
	v_add_u32_e32 v3, v9, v3
	v_mul_lo_u32 v9, s45, v1
	v_add_u32_e32 v3, v3, v9
	v_mul_lo_u32 v15, s44, v1
	v_sub_u32_e32 v9, s49, v3
	v_mov_b32_e32 v18, s45
	v_sub_co_u32_e32 v15, vcc, s48, v15
	v_subb_co_u32_e64 v9, s[8:9], v9, v18, vcc
	v_subrev_co_u32_e64 v18, s[8:9], s44, v15
	v_subbrev_co_u32_e64 v9, s[8:9], 0, v9, s[8:9]
	v_cmp_le_u32_e64 s[8:9], s45, v9
	v_cndmask_b32_e64 v19, 0, -1, s[8:9]
	v_cmp_le_u32_e64 s[8:9], s44, v18
	v_cndmask_b32_e64 v18, 0, -1, s[8:9]
	v_cmp_eq_u32_e64 s[8:9], s45, v9
	v_cndmask_b32_e64 v9, v19, v18, s[8:9]
	v_add_co_u32_e64 v18, s[8:9], 1, v1
	v_add_co_u32_e64 v19, s[8:9], 2, v1
	v_cmp_ne_u32_e64 s[8:9], 0, v9
	v_cndmask_b32_e64 v9, v18, v19, s[8:9]
	v_mov_b32_e32 v18, s49
	v_subb_co_u32_e32 v3, vcc, v18, v3, vcc
	v_cmp_le_u32_e32 vcc, s45, v3
	v_cndmask_b32_e64 v18, 0, -1, vcc
	v_cmp_le_u32_e32 vcc, s44, v15
	v_cndmask_b32_e64 v15, 0, -1, vcc
	v_cmp_eq_u32_e32 vcc, s45, v3
	v_cndmask_b32_e32 v3, v18, v15, vcc
	v_cmp_ne_u32_e32 vcc, 0, v3
	v_cndmask_b32_e32 v1, v1, v9, vcc
	s_xor_b64 s[8:9], s[46:47], s[42:43]
	v_xor_b32_e32 v1, s8, v1
	v_subrev_co_u32_e32 v18, vcc, s8, v1
	v_cvt_f32_u32_e32 v1, s18
	s_cbranch_execnz .LBB11_45
.LBB11_44:                              ;   in Loop: Header=BB11_42 Depth=3
	v_rcp_iflag_f32_e32 v3, v1
	s_sub_i32 s8, 0, s18
	v_mul_f32_e32 v3, 0x4f7ffffe, v3
	v_cvt_u32_f32_e32 v3, v3
	v_mul_lo_u32 v9, s8, v3
	v_mul_hi_u32 v9, v3, v9
	v_add_u32_e32 v3, v3, v9
	v_mul_hi_u32 v3, s40, v3
	v_mul_lo_u32 v15, v3, s18
	v_sub_u32_e32 v15, s40, v15
	v_add_u32_e32 v9, 1, v3
	v_subrev_u32_e32 v18, s18, v15
	v_cmp_le_u32_e32 vcc, s18, v15
	v_cndmask_b32_e32 v15, v15, v18, vcc
	v_cndmask_b32_e32 v3, v3, v9, vcc
	v_add_u32_e32 v9, 1, v3
	v_cmp_le_u32_e32 vcc, s18, v15
	v_cndmask_b32_e32 v18, v3, v9, vcc
.LBB11_45:                              ;   in Loop: Header=BB11_42 Depth=3
	s_or_b64 s[8:9], s[38:39], s[18:19]
	s_mov_b32 s29, s9
	s_cmp_lg_u64 s[28:29], 0
	s_cbranch_scc0 .LBB11_82
; %bb.46:                               ;   in Loop: Header=BB11_42 Depth=3
	s_add_u32 s8, s18, s19
	s_mov_b32 s40, s19
	s_mov_b32 s41, s19
	s_addc_u32 s9, s19, s19
	s_xor_b64 s[42:43], s[8:9], s[40:41]
	v_cvt_f32_u32_e32 v3, s42
	v_cvt_f32_u32_e32 v9, s43
	s_sub_u32 s8, 0, s42
	s_subb_u32 s9, 0, s43
	v_mac_f32_e32 v3, 0x4f800000, v9
	v_rcp_f32_e32 v3, v3
	v_mul_f32_e32 v3, 0x5f7ffffc, v3
	v_mul_f32_e32 v9, 0x2f800000, v3
	v_trunc_f32_e32 v9, v9
	v_mac_f32_e32 v3, 0xcf800000, v9
	v_cvt_u32_f32_e32 v9, v9
	v_cvt_u32_f32_e32 v3, v3
	v_readfirstlane_b32 s29, v9
	v_readfirstlane_b32 s44, v3
	s_mul_i32 s45, s8, s29
	s_mul_hi_u32 s47, s8, s44
	s_mul_i32 s46, s9, s44
	s_add_i32 s45, s47, s45
	s_add_i32 s45, s45, s46
	s_mul_i32 s48, s8, s44
	s_mul_hi_u32 s46, s44, s45
	s_mul_i32 s47, s44, s45
	s_mul_hi_u32 s44, s44, s48
	s_add_u32 s44, s44, s47
	s_addc_u32 s46, 0, s46
	s_mul_hi_u32 s49, s29, s48
	s_mul_i32 s48, s29, s48
	s_add_u32 s44, s44, s48
	s_mul_hi_u32 s47, s29, s45
	s_addc_u32 s44, s46, s49
	s_addc_u32 s46, s47, 0
	s_mul_i32 s45, s29, s45
	s_add_u32 s44, s44, s45
	s_addc_u32 s45, 0, s46
	v_add_co_u32_e32 v3, vcc, s44, v3
	s_cmp_lg_u64 vcc, 0
	s_addc_u32 s29, s29, s45
	v_readfirstlane_b32 s45, v3
	s_mul_i32 s44, s8, s29
	s_mul_hi_u32 s46, s8, s45
	s_add_i32 s44, s46, s44
	s_mul_i32 s9, s9, s45
	s_add_i32 s44, s44, s9
	s_mul_i32 s8, s8, s45
	s_mul_hi_u32 s46, s29, s8
	s_mul_i32 s47, s29, s8
	s_mul_i32 s49, s45, s44
	s_mul_hi_u32 s8, s45, s8
	s_mul_hi_u32 s48, s45, s44
	s_add_u32 s8, s8, s49
	s_addc_u32 s45, 0, s48
	s_add_u32 s8, s8, s47
	s_mul_hi_u32 s9, s29, s44
	s_addc_u32 s8, s45, s46
	s_addc_u32 s9, s9, 0
	s_mul_i32 s44, s29, s44
	s_add_u32 s8, s8, s44
	s_addc_u32 s9, 0, s9
	v_add_co_u32_e32 v3, vcc, s8, v3
	s_cmp_lg_u64 vcc, 0
	s_addc_u32 s29, s29, s9
	s_ashr_i32 s44, s39, 31
	s_add_u32 s8, s38, s44
	s_mov_b32 s45, s44
	s_addc_u32 s9, s39, s44
	s_xor_b64 s[46:47], s[8:9], s[44:45]
	v_readfirstlane_b32 s48, v3
	s_mul_i32 s9, s46, s29
	s_mul_hi_u32 s49, s46, s48
	s_mul_hi_u32 s8, s46, s29
	s_add_u32 s9, s49, s9
	s_addc_u32 s8, 0, s8
	s_mul_hi_u32 s50, s47, s48
	s_mul_i32 s48, s47, s48
	s_add_u32 s9, s9, s48
	s_mul_hi_u32 s49, s47, s29
	s_addc_u32 s8, s8, s50
	s_addc_u32 s9, s49, 0
	s_mul_i32 s29, s47, s29
	s_add_u32 s29, s8, s29
	s_addc_u32 s48, 0, s9
	s_mul_i32 s8, s42, s48
	s_mul_hi_u32 s9, s42, s29
	s_add_i32 s8, s9, s8
	s_mul_i32 s9, s43, s29
	s_add_i32 s49, s8, s9
	s_mul_i32 s9, s42, s29
	v_mov_b32_e32 v3, s9
	s_sub_i32 s8, s47, s49
	v_sub_co_u32_e32 v3, vcc, s46, v3
	s_cmp_lg_u64 vcc, 0
	s_subb_u32 s46, s8, s43
	v_subrev_co_u32_e64 v9, s[8:9], s42, v3
	s_cmp_lg_u64 s[8:9], 0
	s_subb_u32 s8, s46, 0
	s_cmp_ge_u32 s8, s43
	v_readfirstlane_b32 s46, v9
	s_cselect_b32 s9, -1, 0
	s_cmp_ge_u32 s46, s42
	s_cselect_b32 s46, -1, 0
	s_cmp_eq_u32 s8, s43
	s_cselect_b32 s8, s46, s9
	s_add_u32 s9, s29, 1
	s_addc_u32 s46, s48, 0
	s_add_u32 s50, s29, 2
	s_addc_u32 s51, s48, 0
	s_cmp_lg_u32 s8, 0
	s_cselect_b32 s8, s50, s9
	s_cselect_b32 s9, s51, s46
	s_cmp_lg_u64 vcc, 0
	s_subb_u32 s46, s47, s49
	s_cmp_ge_u32 s46, s43
	v_readfirstlane_b32 s49, v3
	s_cselect_b32 s47, -1, 0
	s_cmp_ge_u32 s49, s42
	s_cselect_b32 s42, -1, 0
	s_cmp_eq_u32 s46, s43
	s_cselect_b32 s42, s42, s47
	s_cmp_lg_u32 s42, 0
	s_cselect_b32 s9, s9, s48
	s_cselect_b32 s8, s8, s29
	s_xor_b64 s[40:41], s[44:45], s[40:41]
	s_xor_b64 s[8:9], s[8:9], s[40:41]
	s_sub_u32 s42, s8, s40
	s_subb_u32 s43, s9, s41
	s_cbranch_execnz .LBB11_48
.LBB11_47:                              ;   in Loop: Header=BB11_42 Depth=3
	v_rcp_iflag_f32_e32 v3, v1
	s_sub_i32 s8, 0, s18
	s_mov_b32 s43, s28
	v_mul_f32_e32 v3, 0x4f7ffffe, v3
	v_cvt_u32_f32_e32 v3, v3
	v_readfirstlane_b32 s9, v3
	s_mul_i32 s8, s8, s9
	s_mul_hi_u32 s8, s9, s8
	s_add_i32 s9, s9, s8
	s_mul_hi_u32 s8, s38, s9
	s_mul_i32 s29, s8, s18
	s_sub_i32 s29, s38, s29
	s_add_i32 s9, s8, 1
	s_sub_i32 s40, s29, s18
	s_cmp_ge_u32 s29, s18
	s_cselect_b32 s8, s9, s8
	s_cselect_b32 s29, s40, s29
	s_add_i32 s9, s8, 1
	s_cmp_ge_u32 s29, s18
	s_cselect_b32 s42, s9, s8
.LBB11_48:                              ;   in Loop: Header=BB11_42 Depth=3
	s_mul_i32 s8, s42, s19
	s_mul_hi_u32 s9, s42, s18
	s_add_i32 s8, s9, s8
	s_mul_i32 s9, s43, s18
	s_add_i32 s8, s8, s9
	s_mul_i32 s9, s42, s18
	s_sub_u32 s9, s38, s9
	s_subb_u32 s8, s39, s8
	s_mul_i32 s29, s9, s11
	s_mul_hi_u32 s39, s9, s10
	s_add_i32 s29, s39, s29
	s_mul_i32 s8, s8, s10
	s_add_i32 s41, s29, s8
	s_mul_i32 s40, s9, s10
	s_or_b64 s[8:9], s[40:41], s[18:19]
	s_mov_b32 s29, s9
	s_cmp_lg_u64 s[28:29], 0
	s_cbranch_scc0 .LBB11_83
; %bb.49:                               ;   in Loop: Header=BB11_42 Depth=3
	s_add_u32 s8, s18, s19
	s_mov_b32 s44, s19
	s_mov_b32 s45, s19
	s_addc_u32 s9, s19, s19
	s_xor_b64 s[46:47], s[8:9], s[44:45]
	v_cvt_f32_u32_e32 v3, s46
	v_cvt_f32_u32_e32 v9, s47
	s_sub_u32 s8, 0, s46
	s_subb_u32 s9, 0, s47
	s_ashr_i32 s48, s41, 31
	v_mac_f32_e32 v3, 0x4f800000, v9
	v_rcp_f32_e32 v3, v3
	s_mov_b32 s49, s48
	v_mul_f32_e32 v3, 0x5f7ffffc, v3
	v_mul_f32_e32 v9, 0x2f800000, v3
	v_trunc_f32_e32 v9, v9
	v_mac_f32_e32 v3, 0xcf800000, v9
	v_cvt_u32_f32_e32 v9, v9
	v_cvt_u32_f32_e32 v3, v3
	v_mul_lo_u32 v15, s8, v9
	v_mul_hi_u32 v20, s8, v3
	v_mul_lo_u32 v19, s9, v3
	v_add_u32_e32 v15, v20, v15
	v_mul_lo_u32 v21, s8, v3
	v_add_u32_e32 v15, v15, v19
	v_mul_lo_u32 v20, v3, v15
	v_mul_hi_u32 v22, v3, v21
	v_mul_hi_u32 v19, v3, v15
	v_add_co_u32_e32 v20, vcc, v22, v20
	v_addc_co_u32_e32 v19, vcc, 0, v19, vcc
	v_mul_hi_u32 v23, v9, v21
	v_mul_lo_u32 v21, v9, v21
	v_add_co_u32_e32 v20, vcc, v20, v21
	v_mul_hi_u32 v22, v9, v15
	v_addc_co_u32_e32 v19, vcc, v19, v23, vcc
	v_addc_co_u32_e32 v20, vcc, 0, v22, vcc
	v_mul_lo_u32 v15, v9, v15
	v_add_co_u32_e32 v15, vcc, v19, v15
	v_addc_co_u32_e32 v19, vcc, 0, v20, vcc
	v_add_co_u32_e32 v3, vcc, v3, v15
	v_addc_co_u32_e32 v9, vcc, v9, v19, vcc
	v_mul_lo_u32 v15, s8, v9
	v_mul_hi_u32 v19, s8, v3
	v_add_u32_e32 v15, v19, v15
	v_mul_lo_u32 v19, s9, v3
	v_add_u32_e32 v15, v15, v19
	v_mul_lo_u32 v20, s8, v3
	v_mul_hi_u32 v21, v9, v20
	v_mul_lo_u32 v22, v9, v20
	v_mul_lo_u32 v24, v3, v15
	v_mul_hi_u32 v20, v3, v20
	v_mul_hi_u32 v23, v3, v15
	v_add_co_u32_e32 v20, vcc, v20, v24
	v_addc_co_u32_e32 v23, vcc, 0, v23, vcc
	v_add_co_u32_e32 v20, vcc, v20, v22
	v_mul_hi_u32 v19, v9, v15
	v_addc_co_u32_e32 v20, vcc, v23, v21, vcc
	v_addc_co_u32_e32 v19, vcc, 0, v19, vcc
	v_mul_lo_u32 v15, v9, v15
	v_add_co_u32_e32 v15, vcc, v20, v15
	v_addc_co_u32_e32 v19, vcc, 0, v19, vcc
	s_add_u32 s8, s40, s48
	v_add_co_u32_e32 v3, vcc, v3, v15
	s_addc_u32 s9, s41, s48
	v_addc_co_u32_e32 v9, vcc, v9, v19, vcc
	s_xor_b64 s[50:51], s[8:9], s[48:49]
	v_mul_lo_u32 v19, s50, v9
	v_mul_hi_u32 v20, s50, v3
	v_mul_hi_u32 v15, s50, v9
	v_add_co_u32_e32 v19, vcc, v20, v19
	v_addc_co_u32_e32 v15, vcc, 0, v15, vcc
	v_mul_hi_u32 v21, s51, v3
	v_mul_lo_u32 v3, s51, v3
	v_add_co_u32_e32 v3, vcc, v19, v3
	v_mul_hi_u32 v20, s51, v9
	v_addc_co_u32_e32 v3, vcc, v15, v21, vcc
	v_addc_co_u32_e32 v15, vcc, 0, v20, vcc
	v_mul_lo_u32 v9, s51, v9
	v_add_co_u32_e32 v3, vcc, v3, v9
	v_addc_co_u32_e32 v9, vcc, 0, v15, vcc
	v_mul_lo_u32 v9, s46, v9
	v_mul_hi_u32 v15, s46, v3
	v_add_u32_e32 v9, v15, v9
	v_mul_lo_u32 v15, s47, v3
	v_add_u32_e32 v9, v9, v15
	v_mul_lo_u32 v19, s46, v3
	v_sub_u32_e32 v15, s51, v9
	v_mov_b32_e32 v20, s47
	v_sub_co_u32_e32 v19, vcc, s50, v19
	v_subb_co_u32_e64 v15, s[8:9], v15, v20, vcc
	v_subrev_co_u32_e64 v20, s[8:9], s46, v19
	v_subbrev_co_u32_e64 v15, s[8:9], 0, v15, s[8:9]
	v_cmp_le_u32_e64 s[8:9], s47, v15
	v_cndmask_b32_e64 v21, 0, -1, s[8:9]
	v_cmp_le_u32_e64 s[8:9], s46, v20
	v_cndmask_b32_e64 v20, 0, -1, s[8:9]
	v_cmp_eq_u32_e64 s[8:9], s47, v15
	v_cndmask_b32_e64 v15, v21, v20, s[8:9]
	v_add_co_u32_e64 v20, s[8:9], 1, v3
	v_add_co_u32_e64 v21, s[8:9], 2, v3
	v_cmp_ne_u32_e64 s[8:9], 0, v15
	v_cndmask_b32_e64 v15, v20, v21, s[8:9]
	v_mov_b32_e32 v20, s51
	v_subb_co_u32_e32 v9, vcc, v20, v9, vcc
	v_cmp_le_u32_e32 vcc, s47, v9
	v_cndmask_b32_e64 v20, 0, -1, vcc
	v_cmp_le_u32_e32 vcc, s46, v19
	v_cndmask_b32_e64 v19, 0, -1, vcc
	v_cmp_eq_u32_e32 vcc, s47, v9
	v_cndmask_b32_e32 v9, v20, v19, vcc
	v_cmp_ne_u32_e32 vcc, 0, v9
	v_cndmask_b32_e32 v3, v3, v15, vcc
	s_xor_b64 s[8:9], s[48:49], s[44:45]
	v_xor_b32_e32 v3, s8, v3
	v_subrev_co_u32_e32 v20, vcc, s8, v3
	s_cbranch_execnz .LBB11_51
.LBB11_50:                              ;   in Loop: Header=BB11_42 Depth=3
	v_rcp_iflag_f32_e32 v1, v1
	s_sub_i32 s8, 0, s18
	v_mul_f32_e32 v1, 0x4f7ffffe, v1
	v_cvt_u32_f32_e32 v1, v1
	v_mul_lo_u32 v3, s8, v1
	v_mul_hi_u32 v3, v1, v3
	v_add_u32_e32 v1, v1, v3
	v_mul_hi_u32 v1, s40, v1
	v_mul_lo_u32 v9, v1, s18
	v_sub_u32_e32 v9, s40, v9
	v_add_u32_e32 v3, 1, v1
	v_subrev_u32_e32 v15, s18, v9
	v_cmp_le_u32_e32 vcc, s18, v9
	v_cndmask_b32_e32 v9, v9, v15, vcc
	v_cndmask_b32_e32 v1, v1, v3, vcc
	v_add_u32_e32 v3, 1, v1
	v_cmp_le_u32_e32 vcc, s18, v9
	v_cndmask_b32_e32 v20, v1, v3, vcc
.LBB11_51:                              ;   in Loop: Header=BB11_42 Depth=3
	s_and_saveexec_b64 s[40:41], s[4:5]
	s_cbranch_execz .LBB11_41
; %bb.52:                               ;   in Loop: Header=BB11_42 Depth=3
	s_mul_i32 s8, s42, s10
	v_add_u32_e32 v1, s8, v20
	v_sub_u32_e32 v1, v18, v1
	v_add_u32_e32 v9, 1, v1
	s_mov_b64 s[42:43], 0
	v_mov_b32_e32 v18, v14
	v_mov_b32_e32 v20, v4
	s_branch .LBB11_54
.LBB11_53:                              ;   in Loop: Header=BB11_54 Depth=4
	s_or_b64 exec, exec, s[44:45]
	v_add_u32_e32 v20, 1, v20
	v_cmp_ge_i32_e32 vcc, v20, v44
	s_or_b64 s[42:43], vcc, s[42:43]
	v_add_u32_e32 v18, s17, v18
	s_andn2_b64 exec, exec, s[42:43]
	s_cbranch_execz .LBB11_41
.LBB11_54:                              ;   Parent Loop BB11_12 Depth=1
                                        ;     Parent Loop BB11_27 Depth=2
                                        ;       Parent Loop BB11_42 Depth=3
                                        ; =>      This Loop Header: Depth=4
                                        ;           Child Loop BB11_69 Depth 5
	s_and_saveexec_b64 s[44:45], s[6:7]
	s_cbranch_execz .LBB11_53
; %bb.55:                               ;   in Loop: Header=BB11_54 Depth=4
	v_ashrrev_i32_e32 v3, 31, v20
	v_add_co_u32_e32 v1, vcc, 1, v20
	v_addc_co_u32_e32 v15, vcc, 0, v3, vcc
	v_mul_lo_u32 v19, v1, s12
	v_mul_lo_u32 v15, v15, s21
	v_mad_u64_u32 v[22:23], s[8:9], v1, s21, -1
	v_add3_u32 v23, v15, v23, v19
	v_or_b32_e32 v1, s58, v23
	v_cmp_ne_u64_e32 vcc, 0, v[0:1]
                                        ; implicit-def: $vgpr24_vgpr25
	s_and_saveexec_b64 s[8:9], vcc
	s_xor_b64 s[46:47], exec, s[8:9]
	s_cbranch_execz .LBB11_57
; %bb.56:                               ;   in Loop: Header=BB11_54 Depth=4
	s_add_u32 s8, s59, s58
	s_mov_b32 s48, s58
	s_mov_b32 s49, s58
	s_addc_u32 s9, s58, s58
	s_xor_b64 s[50:51], s[8:9], s[48:49]
	v_cvt_f32_u32_e32 v1, s50
	v_cvt_f32_u32_e32 v15, s51
	s_sub_u32 s8, 0, s50
	s_subb_u32 s9, 0, s51
	v_mac_f32_e32 v1, 0x4f800000, v15
	v_rcp_f32_e32 v1, v1
	v_mul_f32_e32 v1, 0x5f7ffffc, v1
	v_mul_f32_e32 v15, 0x2f800000, v1
	v_trunc_f32_e32 v15, v15
	v_mac_f32_e32 v1, 0xcf800000, v15
	v_cvt_u32_f32_e32 v15, v15
	v_cvt_u32_f32_e32 v1, v1
	v_mul_lo_u32 v19, s8, v15
	v_mul_hi_u32 v24, s8, v1
	v_mul_lo_u32 v21, s9, v1
	v_add_u32_e32 v19, v24, v19
	v_mul_lo_u32 v25, s8, v1
	v_add_u32_e32 v19, v19, v21
	v_mul_lo_u32 v24, v1, v19
	v_mul_hi_u32 v26, v1, v25
	v_mul_hi_u32 v21, v1, v19
	v_add_co_u32_e32 v24, vcc, v26, v24
	v_addc_co_u32_e32 v21, vcc, 0, v21, vcc
	v_mul_hi_u32 v27, v15, v25
	v_mul_lo_u32 v25, v15, v25
	v_add_co_u32_e32 v24, vcc, v24, v25
	v_mul_hi_u32 v26, v15, v19
	v_addc_co_u32_e32 v21, vcc, v21, v27, vcc
	v_addc_co_u32_e32 v24, vcc, 0, v26, vcc
	v_mul_lo_u32 v19, v15, v19
	v_add_co_u32_e32 v19, vcc, v21, v19
	v_addc_co_u32_e32 v21, vcc, 0, v24, vcc
	v_add_co_u32_e32 v1, vcc, v1, v19
	v_addc_co_u32_e32 v15, vcc, v15, v21, vcc
	v_mul_lo_u32 v19, s8, v15
	v_mul_hi_u32 v21, s8, v1
	v_add_u32_e32 v19, v21, v19
	v_mul_lo_u32 v21, s9, v1
	v_add_u32_e32 v19, v19, v21
	v_mul_lo_u32 v24, s8, v1
	v_mul_hi_u32 v25, v15, v24
	v_mul_lo_u32 v26, v15, v24
	v_mul_lo_u32 v28, v1, v19
	v_mul_hi_u32 v24, v1, v24
	v_mul_hi_u32 v27, v1, v19
	v_add_co_u32_e32 v24, vcc, v24, v28
	v_addc_co_u32_e32 v27, vcc, 0, v27, vcc
	v_add_co_u32_e32 v24, vcc, v24, v26
	v_mul_hi_u32 v21, v15, v19
	v_addc_co_u32_e32 v24, vcc, v27, v25, vcc
	v_addc_co_u32_e32 v21, vcc, 0, v21, vcc
	v_mul_lo_u32 v19, v15, v19
	v_add_co_u32_e32 v19, vcc, v24, v19
	v_addc_co_u32_e32 v21, vcc, 0, v21, vcc
	v_add_co_u32_e32 v1, vcc, v1, v19
	v_addc_co_u32_e32 v15, vcc, v15, v21, vcc
	v_ashrrev_i32_e32 v19, 31, v23
	v_add_co_u32_e32 v21, vcc, v22, v19
	v_addc_co_u32_e32 v22, vcc, v23, v19, vcc
	v_xor_b32_e32 v21, v21, v19
	v_xor_b32_e32 v26, v22, v19
	v_mad_u64_u32 v[22:23], s[8:9], v21, v15, 0
	v_mul_hi_u32 v24, v21, v1
	v_add_co_u32_e32 v27, vcc, v24, v22
	v_addc_co_u32_e32 v28, vcc, 0, v23, vcc
	v_mad_u64_u32 v[24:25], s[8:9], v26, v1, 0
	v_add_co_u32_e32 v1, vcc, v27, v24
	v_mad_u64_u32 v[22:23], s[8:9], v26, v15, 0
	v_addc_co_u32_e32 v1, vcc, v28, v25, vcc
	v_addc_co_u32_e32 v15, vcc, 0, v23, vcc
	v_add_co_u32_e32 v1, vcc, v1, v22
	v_addc_co_u32_e32 v15, vcc, 0, v15, vcc
	v_mul_lo_u32 v24, s51, v1
	v_mul_lo_u32 v15, s50, v15
	v_mad_u64_u32 v[22:23], s[8:9], s50, v1, 0
	v_add3_u32 v15, v23, v15, v24
	v_sub_u32_e32 v23, v26, v15
	v_mov_b32_e32 v24, s51
	v_sub_co_u32_e32 v21, vcc, v21, v22
	v_subb_co_u32_e64 v22, s[8:9], v23, v24, vcc
	v_subrev_co_u32_e64 v23, s[8:9], s50, v21
	v_subbrev_co_u32_e64 v22, s[8:9], 0, v22, s[8:9]
	v_cmp_le_u32_e64 s[8:9], s51, v22
	v_subb_co_u32_e32 v15, vcc, v26, v15, vcc
	v_cndmask_b32_e64 v24, 0, -1, s[8:9]
	v_cmp_le_u32_e64 s[8:9], s50, v23
	v_cmp_le_u32_e32 vcc, s51, v15
	v_cndmask_b32_e64 v23, 0, -1, s[8:9]
	v_cmp_eq_u32_e64 s[8:9], s51, v22
	v_cndmask_b32_e64 v25, 0, -1, vcc
	v_cmp_le_u32_e32 vcc, s50, v21
	v_cndmask_b32_e64 v22, v24, v23, s[8:9]
	v_cndmask_b32_e64 v21, 0, -1, vcc
	v_cmp_eq_u32_e32 vcc, s51, v15
	v_add_co_u32_e64 v23, s[8:9], 2, v1
	v_add_co_u32_e64 v24, s[8:9], 1, v1
	v_cndmask_b32_e32 v15, v25, v21, vcc
	v_cmp_ne_u32_e32 vcc, 0, v22
	v_cndmask_b32_e32 v21, v24, v23, vcc
	v_cmp_ne_u32_e32 vcc, 0, v15
	v_cndmask_b32_e32 v1, v1, v21, vcc
	v_xor_b32_e32 v15, s48, v19
	v_xor_b32_e32 v1, v1, v15
	v_sub_co_u32_e32 v24, vcc, v1, v15
                                        ; implicit-def: $vgpr22_vgpr23
.LBB11_57:                              ;   in Loop: Header=BB11_54 Depth=4
	s_or_saveexec_b64 s[8:9], s[46:47]
	v_cvt_f32_u32_e32 v15, s59
	s_xor_b64 exec, exec, s[8:9]
	s_cbranch_execz .LBB11_59
; %bb.58:                               ;   in Loop: Header=BB11_54 Depth=4
	v_rcp_iflag_f32_e32 v1, v15
	s_sub_i32 s29, 0, s59
	v_mul_f32_e32 v1, 0x4f7ffffe, v1
	v_cvt_u32_f32_e32 v1, v1
	v_mul_lo_u32 v19, s29, v1
	v_mul_hi_u32 v19, v1, v19
	v_add_u32_e32 v1, v1, v19
	v_mul_hi_u32 v1, v22, v1
	v_mul_lo_u32 v19, v1, s59
	v_sub_u32_e32 v19, v22, v19
	v_add_u32_e32 v21, 1, v1
	v_subrev_u32_e32 v22, s59, v19
	v_cmp_le_u32_e32 vcc, s59, v19
	v_cndmask_b32_e32 v19, v19, v22, vcc
	v_cndmask_b32_e32 v1, v1, v21, vcc
	v_add_u32_e32 v21, 1, v1
	v_cmp_le_u32_e32 vcc, s59, v19
	v_cndmask_b32_e32 v24, v1, v21, vcc
.LBB11_59:                              ;   in Loop: Header=BB11_54 Depth=4
	s_or_b64 exec, exec, s[8:9]
	v_or_b32_e32 v1, s58, v3
	v_cmp_ne_u64_e32 vcc, 0, v[0:1]
                                        ; implicit-def: $vgpr26_vgpr27
	s_and_saveexec_b64 s[8:9], vcc
	s_xor_b64 s[46:47], exec, s[8:9]
	s_cbranch_execz .LBB11_61
; %bb.60:                               ;   in Loop: Header=BB11_54 Depth=4
	s_add_u32 s8, s59, s58
	s_mov_b32 s48, s58
	s_mov_b32 s49, s58
	s_addc_u32 s9, s58, s58
	s_xor_b64 s[50:51], s[8:9], s[48:49]
	v_cvt_f32_u32_e32 v1, s50
	v_cvt_f32_u32_e32 v19, s51
	s_sub_u32 s8, 0, s50
	s_subb_u32 s9, 0, s51
	v_mac_f32_e32 v1, 0x4f800000, v19
	v_rcp_f32_e32 v1, v1
	v_mul_f32_e32 v1, 0x5f7ffffc, v1
	v_mul_f32_e32 v19, 0x2f800000, v1
	v_trunc_f32_e32 v19, v19
	v_mac_f32_e32 v1, 0xcf800000, v19
	v_cvt_u32_f32_e32 v19, v19
	v_cvt_u32_f32_e32 v1, v1
	v_mul_lo_u32 v21, s8, v19
	v_mul_hi_u32 v23, s8, v1
	v_mul_lo_u32 v22, s9, v1
	v_add_u32_e32 v21, v23, v21
	v_mul_lo_u32 v25, s8, v1
	v_add_u32_e32 v21, v21, v22
	v_mul_lo_u32 v23, v1, v21
	v_mul_hi_u32 v26, v1, v25
	v_mul_hi_u32 v22, v1, v21
	v_add_co_u32_e32 v23, vcc, v26, v23
	v_addc_co_u32_e32 v22, vcc, 0, v22, vcc
	v_mul_hi_u32 v27, v19, v25
	v_mul_lo_u32 v25, v19, v25
	v_add_co_u32_e32 v23, vcc, v23, v25
	v_mul_hi_u32 v26, v19, v21
	v_addc_co_u32_e32 v22, vcc, v22, v27, vcc
	v_addc_co_u32_e32 v23, vcc, 0, v26, vcc
	v_mul_lo_u32 v21, v19, v21
	v_add_co_u32_e32 v21, vcc, v22, v21
	v_addc_co_u32_e32 v22, vcc, 0, v23, vcc
	v_add_co_u32_e32 v1, vcc, v1, v21
	v_addc_co_u32_e32 v19, vcc, v19, v22, vcc
	v_mul_lo_u32 v21, s8, v19
	v_mul_hi_u32 v22, s8, v1
	v_add_u32_e32 v21, v22, v21
	v_mul_lo_u32 v22, s9, v1
	v_add_u32_e32 v21, v21, v22
	v_mul_lo_u32 v23, s8, v1
	v_mul_hi_u32 v25, v19, v23
	v_mul_lo_u32 v26, v19, v23
	v_mul_lo_u32 v28, v1, v21
	v_mul_hi_u32 v23, v1, v23
	v_mul_hi_u32 v27, v1, v21
	v_add_co_u32_e32 v23, vcc, v23, v28
	v_addc_co_u32_e32 v27, vcc, 0, v27, vcc
	v_add_co_u32_e32 v23, vcc, v23, v26
	v_mul_hi_u32 v22, v19, v21
	v_addc_co_u32_e32 v23, vcc, v27, v25, vcc
	v_addc_co_u32_e32 v22, vcc, 0, v22, vcc
	v_mul_lo_u32 v21, v19, v21
	v_add_co_u32_e32 v21, vcc, v23, v21
	v_addc_co_u32_e32 v22, vcc, 0, v22, vcc
	v_add_co_u32_e32 v1, vcc, v1, v21
	v_addc_co_u32_e32 v19, vcc, v19, v22, vcc
	v_ashrrev_i32_e32 v21, 31, v3
	v_add_co_u32_e32 v22, vcc, v20, v21
	v_addc_co_u32_e32 v23, vcc, v3, v21, vcc
	v_xor_b32_e32 v28, v22, v21
	v_xor_b32_e32 v25, v23, v21
	v_mad_u64_u32 v[22:23], s[8:9], v28, v19, 0
	v_mul_hi_u32 v26, v28, v1
	v_add_co_u32_e32 v29, vcc, v26, v22
	v_addc_co_u32_e32 v30, vcc, 0, v23, vcc
	v_mad_u64_u32 v[26:27], s[8:9], v25, v1, 0
	v_add_co_u32_e32 v1, vcc, v29, v26
	v_mad_u64_u32 v[22:23], s[8:9], v25, v19, 0
	v_addc_co_u32_e32 v1, vcc, v30, v27, vcc
	v_addc_co_u32_e32 v19, vcc, 0, v23, vcc
	v_add_co_u32_e32 v1, vcc, v1, v22
	v_addc_co_u32_e32 v19, vcc, 0, v19, vcc
	v_mul_lo_u32 v26, s51, v1
	v_mul_lo_u32 v27, s50, v19
	v_mad_u64_u32 v[22:23], s[8:9], s50, v1, 0
	v_add3_u32 v23, v23, v27, v26
	v_sub_u32_e32 v26, v25, v23
	v_mov_b32_e32 v27, s51
	v_sub_co_u32_e32 v22, vcc, v28, v22
	v_subb_co_u32_e64 v26, s[8:9], v26, v27, vcc
	v_subrev_co_u32_e64 v27, s[8:9], s50, v22
	v_subbrev_co_u32_e64 v26, s[8:9], 0, v26, s[8:9]
	v_cmp_le_u32_e64 s[8:9], s51, v26
	v_cndmask_b32_e64 v28, 0, -1, s[8:9]
	v_cmp_le_u32_e64 s[8:9], s50, v27
	v_cndmask_b32_e64 v27, 0, -1, s[8:9]
	v_cmp_eq_u32_e64 s[8:9], s51, v26
	v_cndmask_b32_e64 v26, v28, v27, s[8:9]
	v_add_co_u32_e64 v27, s[8:9], 2, v1
	v_subb_co_u32_e32 v23, vcc, v25, v23, vcc
	v_addc_co_u32_e64 v28, s[8:9], 0, v19, s[8:9]
	v_cmp_le_u32_e32 vcc, s51, v23
	v_add_co_u32_e64 v29, s[8:9], 1, v1
	v_cndmask_b32_e64 v25, 0, -1, vcc
	v_cmp_le_u32_e32 vcc, s50, v22
	v_addc_co_u32_e64 v30, s[8:9], 0, v19, s[8:9]
	v_cndmask_b32_e64 v22, 0, -1, vcc
	v_cmp_eq_u32_e32 vcc, s51, v23
	v_cmp_ne_u32_e64 s[8:9], 0, v26
	v_cndmask_b32_e32 v22, v25, v22, vcc
	v_cmp_ne_u32_e32 vcc, 0, v22
	v_cndmask_b32_e64 v22, v29, v27, s[8:9]
	v_cndmask_b32_e64 v26, v30, v28, s[8:9]
	v_cndmask_b32_e32 v1, v1, v22, vcc
	v_xor_b32_e32 v22, s49, v21
	v_xor_b32_e32 v21, s48, v21
	v_cndmask_b32_e32 v19, v19, v26, vcc
	v_xor_b32_e32 v1, v1, v21
	v_xor_b32_e32 v19, v19, v22
	v_sub_co_u32_e32 v26, vcc, v1, v21
	v_subb_co_u32_e32 v27, vcc, v19, v22, vcc
.LBB11_61:                              ;   in Loop: Header=BB11_54 Depth=4
	s_andn2_saveexec_b64 s[8:9], s[46:47]
	s_cbranch_execz .LBB11_63
; %bb.62:                               ;   in Loop: Header=BB11_54 Depth=4
	v_rcp_iflag_f32_e32 v1, v15
	s_sub_i32 s29, 0, s59
	v_mov_b32_e32 v27, v0
	v_mul_f32_e32 v1, 0x4f7ffffe, v1
	v_cvt_u32_f32_e32 v1, v1
	v_mul_lo_u32 v19, s29, v1
	v_mul_hi_u32 v19, v1, v19
	v_add_u32_e32 v1, v1, v19
	v_mul_hi_u32 v1, v20, v1
	v_mul_lo_u32 v19, v1, s59
	v_sub_u32_e32 v19, v20, v19
	v_add_u32_e32 v21, 1, v1
	v_subrev_u32_e32 v22, s59, v19
	v_cmp_le_u32_e32 vcc, s59, v19
	v_cndmask_b32_e32 v19, v19, v22, vcc
	v_cndmask_b32_e32 v1, v1, v21, vcc
	v_add_u32_e32 v21, 1, v1
	v_cmp_le_u32_e32 vcc, s59, v19
	v_cndmask_b32_e32 v26, v1, v21, vcc
.LBB11_63:                              ;   in Loop: Header=BB11_54 Depth=4
	s_or_b64 exec, exec, s[8:9]
	v_mul_lo_u32 v1, v27, s59
	v_mul_lo_u32 v19, v26, s58
	v_mad_u64_u32 v[22:23], s[8:9], v26, s59, 0
	v_add3_u32 v1, v23, v19, v1
	v_sub_co_u32_e32 v19, vcc, v20, v22
	v_subb_co_u32_e32 v1, vcc, v3, v1, vcc
	v_mul_lo_u32 v1, v1, s21
	v_mul_lo_u32 v3, v19, s12
	v_mad_u64_u32 v[22:23], s[8:9], v19, s21, 0
	v_add3_u32 v23, v23, v3, v1
	v_or_b32_e32 v1, s58, v23
	v_cmp_ne_u64_e32 vcc, 0, v[0:1]
                                        ; implicit-def: $vgpr28_vgpr29
	s_and_saveexec_b64 s[8:9], vcc
	s_xor_b64 s[46:47], exec, s[8:9]
	s_cbranch_execz .LBB11_65
; %bb.64:                               ;   in Loop: Header=BB11_54 Depth=4
	s_add_u32 s8, s59, s58
	s_mov_b32 s48, s58
	s_mov_b32 s49, s58
	s_addc_u32 s9, s58, s58
	s_xor_b64 s[50:51], s[8:9], s[48:49]
	v_cvt_f32_u32_e32 v1, s50
	v_cvt_f32_u32_e32 v3, s51
	s_sub_u32 s8, 0, s50
	s_subb_u32 s9, 0, s51
	v_mac_f32_e32 v1, 0x4f800000, v3
	v_rcp_f32_e32 v1, v1
	v_mul_f32_e32 v1, 0x5f7ffffc, v1
	v_mul_f32_e32 v3, 0x2f800000, v1
	v_trunc_f32_e32 v3, v3
	v_mac_f32_e32 v1, 0xcf800000, v3
	v_cvt_u32_f32_e32 v3, v3
	v_cvt_u32_f32_e32 v1, v1
	v_mul_lo_u32 v15, s8, v3
	v_mul_hi_u32 v21, s8, v1
	v_mul_lo_u32 v19, s9, v1
	v_add_u32_e32 v15, v21, v15
	v_mul_lo_u32 v25, s8, v1
	v_add_u32_e32 v15, v15, v19
	v_mul_lo_u32 v21, v1, v15
	v_mul_hi_u32 v27, v1, v25
	v_mul_hi_u32 v19, v1, v15
	v_add_co_u32_e32 v21, vcc, v27, v21
	v_addc_co_u32_e32 v19, vcc, 0, v19, vcc
	v_mul_hi_u32 v28, v3, v25
	v_mul_lo_u32 v25, v3, v25
	v_add_co_u32_e32 v21, vcc, v21, v25
	v_mul_hi_u32 v27, v3, v15
	v_addc_co_u32_e32 v19, vcc, v19, v28, vcc
	v_addc_co_u32_e32 v21, vcc, 0, v27, vcc
	v_mul_lo_u32 v15, v3, v15
	v_add_co_u32_e32 v15, vcc, v19, v15
	v_addc_co_u32_e32 v19, vcc, 0, v21, vcc
	v_add_co_u32_e32 v1, vcc, v1, v15
	v_addc_co_u32_e32 v3, vcc, v3, v19, vcc
	v_mul_lo_u32 v15, s8, v3
	v_mul_hi_u32 v19, s8, v1
	v_add_u32_e32 v15, v19, v15
	v_mul_lo_u32 v19, s9, v1
	v_add_u32_e32 v15, v15, v19
	v_mul_lo_u32 v21, s8, v1
	v_mul_hi_u32 v25, v3, v21
	v_mul_lo_u32 v27, v3, v21
	v_mul_lo_u32 v29, v1, v15
	v_mul_hi_u32 v21, v1, v21
	v_mul_hi_u32 v28, v1, v15
	v_add_co_u32_e32 v21, vcc, v21, v29
	v_addc_co_u32_e32 v28, vcc, 0, v28, vcc
	v_add_co_u32_e32 v21, vcc, v21, v27
	v_mul_hi_u32 v19, v3, v15
	v_addc_co_u32_e32 v21, vcc, v28, v25, vcc
	v_addc_co_u32_e32 v19, vcc, 0, v19, vcc
	v_mul_lo_u32 v15, v3, v15
	v_add_co_u32_e32 v15, vcc, v21, v15
	v_addc_co_u32_e32 v19, vcc, 0, v19, vcc
	v_add_co_u32_e32 v1, vcc, v1, v15
	v_addc_co_u32_e32 v3, vcc, v3, v19, vcc
	v_ashrrev_i32_e32 v15, 31, v23
	v_add_co_u32_e32 v19, vcc, v22, v15
	v_xor_b32_e32 v19, v19, v15
	v_addc_co_u32_e32 v21, vcc, v23, v15, vcc
	v_mad_u64_u32 v[22:23], s[8:9], v19, v3, 0
	v_mul_hi_u32 v25, v19, v1
	v_xor_b32_e32 v21, v21, v15
	v_add_co_u32_e32 v25, vcc, v25, v22
	v_addc_co_u32_e32 v27, vcc, 0, v23, vcc
	v_mad_u64_u32 v[28:29], s[8:9], v21, v1, 0
	v_add_co_u32_e32 v1, vcc, v25, v28
	v_mad_u64_u32 v[22:23], s[8:9], v21, v3, 0
	v_addc_co_u32_e32 v1, vcc, v27, v29, vcc
	v_addc_co_u32_e32 v3, vcc, 0, v23, vcc
	v_add_co_u32_e32 v1, vcc, v1, v22
	v_addc_co_u32_e32 v3, vcc, 0, v3, vcc
	v_mul_lo_u32 v25, s51, v1
	v_mul_lo_u32 v3, s50, v3
	v_mad_u64_u32 v[22:23], s[8:9], s50, v1, 0
	v_add3_u32 v3, v23, v3, v25
	v_sub_u32_e32 v23, v21, v3
	v_mov_b32_e32 v25, s51
	v_sub_co_u32_e32 v19, vcc, v19, v22
	v_subb_co_u32_e64 v22, s[8:9], v23, v25, vcc
	v_subrev_co_u32_e64 v23, s[8:9], s50, v19
	v_subbrev_co_u32_e64 v22, s[8:9], 0, v22, s[8:9]
	v_cmp_le_u32_e64 s[8:9], s51, v22
	v_subb_co_u32_e32 v3, vcc, v21, v3, vcc
	v_cndmask_b32_e64 v25, 0, -1, s[8:9]
	v_cmp_le_u32_e64 s[8:9], s50, v23
	v_cmp_le_u32_e32 vcc, s51, v3
	v_cndmask_b32_e64 v23, 0, -1, s[8:9]
	v_cmp_eq_u32_e64 s[8:9], s51, v22
	v_cndmask_b32_e64 v21, 0, -1, vcc
	v_cmp_le_u32_e32 vcc, s50, v19
	v_cndmask_b32_e64 v22, v25, v23, s[8:9]
	v_cndmask_b32_e64 v19, 0, -1, vcc
	v_cmp_eq_u32_e32 vcc, s51, v3
	v_add_co_u32_e64 v23, s[8:9], 2, v1
	v_add_co_u32_e64 v25, s[8:9], 1, v1
	v_cndmask_b32_e32 v3, v21, v19, vcc
	v_cmp_ne_u32_e32 vcc, 0, v22
	v_cndmask_b32_e32 v19, v25, v23, vcc
	v_cmp_ne_u32_e32 vcc, 0, v3
	v_cndmask_b32_e32 v1, v1, v19, vcc
	v_xor_b32_e32 v3, s48, v15
	v_xor_b32_e32 v1, v1, v3
	v_sub_co_u32_e32 v28, vcc, v1, v3
                                        ; implicit-def: $vgpr15
                                        ; implicit-def: $vgpr22_vgpr23
.LBB11_65:                              ;   in Loop: Header=BB11_54 Depth=4
	s_andn2_saveexec_b64 s[8:9], s[46:47]
	s_cbranch_execz .LBB11_67
; %bb.66:                               ;   in Loop: Header=BB11_54 Depth=4
	v_rcp_iflag_f32_e32 v1, v15
	s_sub_i32 s29, 0, s59
	v_mul_f32_e32 v1, 0x4f7ffffe, v1
	v_cvt_u32_f32_e32 v1, v1
	v_mul_lo_u32 v3, s29, v1
	v_mul_hi_u32 v3, v1, v3
	v_add_u32_e32 v1, v1, v3
	v_mul_hi_u32 v1, v22, v1
	v_mul_lo_u32 v3, v1, s59
	v_sub_u32_e32 v3, v22, v3
	v_add_u32_e32 v15, 1, v1
	v_subrev_u32_e32 v19, s59, v3
	v_cmp_le_u32_e32 vcc, s59, v3
	v_cndmask_b32_e32 v3, v3, v19, vcc
	v_cndmask_b32_e32 v1, v1, v15, vcc
	v_add_u32_e32 v15, 1, v1
	v_cmp_le_u32_e32 vcc, s59, v3
	v_cndmask_b32_e32 v28, v1, v15, vcc
.LBB11_67:                              ;   in Loop: Header=BB11_54 Depth=4
	s_or_b64 exec, exec, s[8:9]
	global_load_ushort v3, v[10:11], off
	v_ashrrev_i32_e32 v19, 31, v18
	v_lshlrev_b64 v[22:23], 1, v[18:19]
	v_mov_b32_e32 v1, s37
	v_add_co_u32_e32 v22, vcc, s36, v22
	v_mad_u64_u32 v[26:27], s[8:9], v26, s21, v[28:29]
	v_addc_co_u32_e32 v23, vcc, v1, v23, vcc
	v_sub_u32_e32 v1, v24, v26
	v_mul_lo_u32 v1, v9, v1
	v_add_u32_e32 v24, v1, v9
	s_mov_b64 s[46:47], 0
	v_pk_mov_b32 v[26:27], v[16:17], v[16:17] op_sel:[0,1]
	v_pk_mov_b32 v[28:29], v[12:13], v[12:13] op_sel:[0,1]
	s_branch .LBB11_69
.LBB11_68:                              ;   in Loop: Header=BB11_69 Depth=5
	s_or_b64 exec, exec, s[8:9]
	global_load_ushort v1, v[22:23], off
	v_mad_u64_u32 v[32:33], s[8:9], v32, s54, v[36:37]
	v_sub_u32_e32 v19, v30, v32
	v_mad_u64_u32 v[30:31], s[8:9], v24, v19, v[24:25]
	v_cvt_f32_i32_e32 v19, v30
	v_add_co_u32_e32 v28, vcc, 1, v28
	v_addc_co_u32_e32 v29, vcc, 0, v29, vcc
	v_add_co_u32_e32 v22, vcc, 2, v22
	v_addc_co_u32_e32 v23, vcc, 0, v23, vcc
	v_cmp_ge_i32_e32 vcc, v28, v7
	s_or_b64 s[46:47], vcc, s[46:47]
	s_waitcnt vmcnt(1)
	v_lshlrev_b32_e32 v3, 16, v3
	v_mov_b32_e32 v15, s33
	s_waitcnt vmcnt(0)
	v_lshlrev_b32_e32 v1, 16, v1
	v_div_scale_f32 v21, s[8:9], v19, v19, v1
	v_rcp_f32_e32 v25, v21
	v_div_scale_f32 v30, vcc, v1, v19, v1
	v_fma_f32 v31, -v21, v25, 1.0
	v_fmac_f32_e32 v25, v31, v25
	v_mul_f32_e32 v31, v30, v25
	v_fma_f32 v32, -v21, v31, v30
	v_fmac_f32_e32 v31, v32, v25
	v_fma_f32 v21, -v21, v31, v30
	v_div_fmas_f32 v21, v21, v25, v31
	v_div_fixup_f32 v1, v21, v19, v1
	v_bfe_u32 v19, v1, 16, 1
	v_add3_u32 v19, v1, v19, s64
	v_and_b32_e32 v19, 0xffff0000, v19
	v_cmp_o_f32_e32 vcc, v1, v1
	v_cndmask_b32_e32 v1, v42, v19, vcc
	v_add_f32_e32 v1, v1, v3
	v_bfe_u32 v3, v1, 16, 1
	v_add3_u32 v3, v1, v3, s64
	v_lshrrev_b32_e32 v3, 16, v3
	v_cmp_o_f32_e32 vcc, v1, v1
	v_cndmask_b32_e32 v3, v43, v3, vcc
	v_add_co_u32_e32 v26, vcc, s54, v26
	v_addc_co_u32_e32 v27, vcc, v27, v15, vcc
	global_store_short v[10:11], v3, off
	s_andn2_b64 exec, exec, s[46:47]
	s_cbranch_execz .LBB11_53
.LBB11_69:                              ;   Parent Loop BB11_12 Depth=1
                                        ;     Parent Loop BB11_27 Depth=2
                                        ;       Parent Loop BB11_42 Depth=3
                                        ;         Parent Loop BB11_54 Depth=4
                                        ; =>        This Inner Loop Header: Depth=5
	v_or_b32_e32 v1, s60, v27
	v_cmp_ne_u64_e32 vcc, 0, v[0:1]
                                        ; implicit-def: $vgpr30_vgpr31
	s_and_saveexec_b64 s[8:9], vcc
	s_xor_b64 s[48:49], exec, s[8:9]
	s_cbranch_execz .LBB11_71
; %bb.70:                               ;   in Loop: Header=BB11_69 Depth=5
	s_add_u32 s8, s61, s60
	s_mov_b32 s50, s60
	s_mov_b32 s51, s60
	s_addc_u32 s9, s60, s60
	s_xor_b64 s[52:53], s[8:9], s[50:51]
	v_cvt_f32_u32_e32 v1, s52
	v_cvt_f32_u32_e32 v15, s53
	s_sub_u32 s8, 0, s52
	s_subb_u32 s9, 0, s53
	v_mac_f32_e32 v1, 0x4f800000, v15
	v_rcp_f32_e32 v1, v1
	v_mul_f32_e32 v1, 0x5f7ffffc, v1
	v_mul_f32_e32 v15, 0x2f800000, v1
	v_trunc_f32_e32 v15, v15
	v_mac_f32_e32 v1, 0xcf800000, v15
	v_cvt_u32_f32_e32 v15, v15
	v_cvt_u32_f32_e32 v1, v1
	v_mul_lo_u32 v19, s8, v15
	v_mul_hi_u32 v25, s8, v1
	v_mul_lo_u32 v21, s9, v1
	v_add_u32_e32 v19, v25, v19
	v_mul_lo_u32 v30, s8, v1
	v_add_u32_e32 v19, v19, v21
	v_mul_lo_u32 v25, v1, v19
	v_mul_hi_u32 v31, v1, v30
	v_mul_hi_u32 v21, v1, v19
	v_add_co_u32_e32 v25, vcc, v31, v25
	v_addc_co_u32_e32 v21, vcc, 0, v21, vcc
	v_mul_hi_u32 v32, v15, v30
	v_mul_lo_u32 v30, v15, v30
	v_add_co_u32_e32 v25, vcc, v25, v30
	v_mul_hi_u32 v31, v15, v19
	v_addc_co_u32_e32 v21, vcc, v21, v32, vcc
	v_addc_co_u32_e32 v25, vcc, 0, v31, vcc
	v_mul_lo_u32 v19, v15, v19
	v_add_co_u32_e32 v19, vcc, v21, v19
	v_addc_co_u32_e32 v21, vcc, 0, v25, vcc
	v_add_co_u32_e32 v1, vcc, v1, v19
	v_addc_co_u32_e32 v15, vcc, v15, v21, vcc
	v_mul_lo_u32 v19, s8, v15
	v_mul_hi_u32 v21, s8, v1
	v_add_u32_e32 v19, v21, v19
	v_mul_lo_u32 v21, s9, v1
	v_add_u32_e32 v19, v19, v21
	v_mul_lo_u32 v25, s8, v1
	v_mul_hi_u32 v30, v15, v25
	v_mul_lo_u32 v31, v15, v25
	v_mul_lo_u32 v33, v1, v19
	v_mul_hi_u32 v25, v1, v25
	v_mul_hi_u32 v32, v1, v19
	v_add_co_u32_e32 v25, vcc, v25, v33
	v_addc_co_u32_e32 v32, vcc, 0, v32, vcc
	v_add_co_u32_e32 v25, vcc, v25, v31
	v_mul_hi_u32 v21, v15, v19
	v_addc_co_u32_e32 v25, vcc, v32, v30, vcc
	v_addc_co_u32_e32 v21, vcc, 0, v21, vcc
	v_mul_lo_u32 v19, v15, v19
	v_add_co_u32_e32 v19, vcc, v25, v19
	v_addc_co_u32_e32 v21, vcc, 0, v21, vcc
	v_add_co_u32_e32 v1, vcc, v1, v19
	v_addc_co_u32_e32 v15, vcc, v15, v21, vcc
	v_ashrrev_i32_e32 v19, 31, v27
	v_add_co_u32_e32 v21, vcc, v26, v19
	v_xor_b32_e32 v21, v21, v19
	v_addc_co_u32_e32 v25, vcc, v27, v19, vcc
	v_mad_u64_u32 v[30:31], s[8:9], v21, v15, 0
	v_mul_hi_u32 v32, v21, v1
	v_xor_b32_e32 v25, v25, v19
	v_add_co_u32_e32 v34, vcc, v32, v30
	v_addc_co_u32_e32 v35, vcc, 0, v31, vcc
	v_mad_u64_u32 v[32:33], s[8:9], v25, v1, 0
	v_add_co_u32_e32 v1, vcc, v34, v32
	v_mad_u64_u32 v[30:31], s[8:9], v25, v15, 0
	v_addc_co_u32_e32 v1, vcc, v35, v33, vcc
	v_addc_co_u32_e32 v15, vcc, 0, v31, vcc
	v_add_co_u32_e32 v1, vcc, v1, v30
	v_addc_co_u32_e32 v15, vcc, 0, v15, vcc
	v_mul_lo_u32 v32, s53, v1
	v_mul_lo_u32 v15, s52, v15
	v_mad_u64_u32 v[30:31], s[8:9], s52, v1, 0
	v_add3_u32 v15, v31, v15, v32
	v_sub_u32_e32 v31, v25, v15
	v_mov_b32_e32 v32, s53
	v_sub_co_u32_e32 v21, vcc, v21, v30
	v_subb_co_u32_e64 v30, s[8:9], v31, v32, vcc
	v_subrev_co_u32_e64 v31, s[8:9], s52, v21
	v_subbrev_co_u32_e64 v30, s[8:9], 0, v30, s[8:9]
	v_cmp_le_u32_e64 s[8:9], s53, v30
	v_subb_co_u32_e32 v15, vcc, v25, v15, vcc
	v_cndmask_b32_e64 v32, 0, -1, s[8:9]
	v_cmp_le_u32_e64 s[8:9], s52, v31
	v_cmp_le_u32_e32 vcc, s53, v15
	v_cndmask_b32_e64 v31, 0, -1, s[8:9]
	v_cmp_eq_u32_e64 s[8:9], s53, v30
	v_cndmask_b32_e64 v25, 0, -1, vcc
	v_cmp_le_u32_e32 vcc, s52, v21
	v_cndmask_b32_e64 v30, v32, v31, s[8:9]
	v_cndmask_b32_e64 v21, 0, -1, vcc
	v_cmp_eq_u32_e32 vcc, s53, v15
	v_add_co_u32_e64 v31, s[8:9], 2, v1
	v_add_co_u32_e64 v32, s[8:9], 1, v1
	v_cndmask_b32_e32 v15, v25, v21, vcc
	v_cmp_ne_u32_e32 vcc, 0, v30
	v_cndmask_b32_e32 v21, v32, v31, vcc
	v_cmp_ne_u32_e32 vcc, 0, v15
	v_cndmask_b32_e32 v1, v1, v21, vcc
	v_xor_b32_e32 v15, s50, v19
	v_xor_b32_e32 v1, v1, v15
	v_sub_co_u32_e32 v30, vcc, v1, v15
.LBB11_71:                              ;   in Loop: Header=BB11_69 Depth=5
	s_or_saveexec_b64 s[8:9], s[48:49]
	v_cvt_f32_u32_e32 v15, s61
	s_xor_b64 exec, exec, s[8:9]
	s_cbranch_execz .LBB11_73
; %bb.72:                               ;   in Loop: Header=BB11_69 Depth=5
	v_rcp_iflag_f32_e32 v1, v15
	s_sub_i32 s29, 0, s61
	v_mul_f32_e32 v1, 0x4f7ffffe, v1
	v_cvt_u32_f32_e32 v1, v1
	v_mul_lo_u32 v19, s29, v1
	v_mul_hi_u32 v19, v1, v19
	v_add_u32_e32 v1, v1, v19
	v_mul_hi_u32 v1, v26, v1
	v_mul_lo_u32 v19, v1, s61
	v_sub_u32_e32 v19, v26, v19
	v_add_u32_e32 v21, 1, v1
	v_subrev_u32_e32 v25, s61, v19
	v_cmp_le_u32_e32 vcc, s61, v19
	v_cndmask_b32_e32 v19, v19, v25, vcc
	v_cndmask_b32_e32 v1, v1, v21, vcc
	v_add_u32_e32 v21, 1, v1
	v_cmp_le_u32_e32 vcc, s61, v19
	v_cndmask_b32_e32 v30, v1, v21, vcc
.LBB11_73:                              ;   in Loop: Header=BB11_69 Depth=5
	s_or_b64 exec, exec, s[8:9]
	v_or_b32_e32 v1, s60, v29
	v_cmp_ne_u64_e32 vcc, 0, v[0:1]
                                        ; implicit-def: $vgpr32_vgpr33
	s_and_saveexec_b64 s[8:9], vcc
	s_xor_b64 s[48:49], exec, s[8:9]
	s_cbranch_execz .LBB11_75
; %bb.74:                               ;   in Loop: Header=BB11_69 Depth=5
	s_add_u32 s8, s61, s60
	s_mov_b32 s50, s60
	s_mov_b32 s51, s60
	s_addc_u32 s9, s60, s60
	s_xor_b64 s[52:53], s[8:9], s[50:51]
	v_cvt_f32_u32_e32 v1, s52
	v_cvt_f32_u32_e32 v19, s53
	s_sub_u32 s8, 0, s52
	s_subb_u32 s9, 0, s53
	v_mac_f32_e32 v1, 0x4f800000, v19
	v_rcp_f32_e32 v1, v1
	v_mul_f32_e32 v1, 0x5f7ffffc, v1
	v_mul_f32_e32 v19, 0x2f800000, v1
	v_trunc_f32_e32 v19, v19
	v_mac_f32_e32 v1, 0xcf800000, v19
	v_cvt_u32_f32_e32 v19, v19
	v_cvt_u32_f32_e32 v1, v1
	v_mul_lo_u32 v21, s8, v19
	v_mul_hi_u32 v31, s8, v1
	v_mul_lo_u32 v25, s9, v1
	v_add_u32_e32 v21, v31, v21
	v_mul_lo_u32 v32, s8, v1
	v_add_u32_e32 v21, v21, v25
	v_mul_lo_u32 v31, v1, v21
	v_mul_hi_u32 v33, v1, v32
	v_mul_hi_u32 v25, v1, v21
	v_add_co_u32_e32 v31, vcc, v33, v31
	v_addc_co_u32_e32 v25, vcc, 0, v25, vcc
	v_mul_hi_u32 v34, v19, v32
	v_mul_lo_u32 v32, v19, v32
	v_add_co_u32_e32 v31, vcc, v31, v32
	v_mul_hi_u32 v33, v19, v21
	v_addc_co_u32_e32 v25, vcc, v25, v34, vcc
	v_addc_co_u32_e32 v31, vcc, 0, v33, vcc
	v_mul_lo_u32 v21, v19, v21
	v_add_co_u32_e32 v21, vcc, v25, v21
	v_addc_co_u32_e32 v25, vcc, 0, v31, vcc
	v_add_co_u32_e32 v1, vcc, v1, v21
	v_addc_co_u32_e32 v19, vcc, v19, v25, vcc
	v_mul_lo_u32 v21, s8, v19
	v_mul_hi_u32 v25, s8, v1
	v_add_u32_e32 v21, v25, v21
	v_mul_lo_u32 v25, s9, v1
	v_add_u32_e32 v21, v21, v25
	v_mul_lo_u32 v31, s8, v1
	v_mul_hi_u32 v32, v19, v31
	v_mul_lo_u32 v33, v19, v31
	v_mul_lo_u32 v35, v1, v21
	v_mul_hi_u32 v31, v1, v31
	v_mul_hi_u32 v34, v1, v21
	v_add_co_u32_e32 v31, vcc, v31, v35
	v_addc_co_u32_e32 v34, vcc, 0, v34, vcc
	v_add_co_u32_e32 v31, vcc, v31, v33
	v_mul_hi_u32 v25, v19, v21
	v_addc_co_u32_e32 v31, vcc, v34, v32, vcc
	v_addc_co_u32_e32 v25, vcc, 0, v25, vcc
	v_mul_lo_u32 v21, v19, v21
	v_add_co_u32_e32 v21, vcc, v31, v21
	v_addc_co_u32_e32 v25, vcc, 0, v25, vcc
	v_add_co_u32_e32 v1, vcc, v1, v21
	v_addc_co_u32_e32 v19, vcc, v19, v25, vcc
	v_ashrrev_i32_e32 v21, 31, v29
	v_add_co_u32_e32 v25, vcc, v28, v21
	v_xor_b32_e32 v25, v25, v21
	v_addc_co_u32_e32 v31, vcc, v29, v21, vcc
	v_mad_u64_u32 v[32:33], s[8:9], v25, v19, 0
	v_mul_hi_u32 v34, v25, v1
	v_xor_b32_e32 v31, v31, v21
	v_add_co_u32_e32 v36, vcc, v34, v32
	v_addc_co_u32_e32 v37, vcc, 0, v33, vcc
	v_mad_u64_u32 v[34:35], s[8:9], v31, v1, 0
	v_add_co_u32_e32 v1, vcc, v36, v34
	v_mad_u64_u32 v[32:33], s[8:9], v31, v19, 0
	v_addc_co_u32_e32 v1, vcc, v37, v35, vcc
	v_addc_co_u32_e32 v19, vcc, 0, v33, vcc
	v_add_co_u32_e32 v1, vcc, v1, v32
	v_addc_co_u32_e32 v19, vcc, 0, v19, vcc
	v_mul_lo_u32 v34, s53, v1
	v_mul_lo_u32 v35, s52, v19
	v_mad_u64_u32 v[32:33], s[8:9], s52, v1, 0
	v_add3_u32 v33, v33, v35, v34
	v_sub_u32_e32 v34, v31, v33
	v_mov_b32_e32 v35, s53
	v_sub_co_u32_e32 v25, vcc, v25, v32
	v_subb_co_u32_e64 v32, s[8:9], v34, v35, vcc
	v_subrev_co_u32_e64 v34, s[8:9], s52, v25
	v_subbrev_co_u32_e64 v32, s[8:9], 0, v32, s[8:9]
	v_cmp_le_u32_e64 s[8:9], s53, v32
	v_cndmask_b32_e64 v35, 0, -1, s[8:9]
	v_cmp_le_u32_e64 s[8:9], s52, v34
	v_cndmask_b32_e64 v34, 0, -1, s[8:9]
	v_cmp_eq_u32_e64 s[8:9], s53, v32
	v_cndmask_b32_e64 v32, v35, v34, s[8:9]
	v_add_co_u32_e64 v34, s[8:9], 2, v1
	v_subb_co_u32_e32 v31, vcc, v31, v33, vcc
	v_addc_co_u32_e64 v35, s[8:9], 0, v19, s[8:9]
	v_cmp_le_u32_e32 vcc, s53, v31
	v_add_co_u32_e64 v36, s[8:9], 1, v1
	v_cndmask_b32_e64 v33, 0, -1, vcc
	v_cmp_le_u32_e32 vcc, s52, v25
	v_addc_co_u32_e64 v37, s[8:9], 0, v19, s[8:9]
	v_cndmask_b32_e64 v25, 0, -1, vcc
	v_cmp_eq_u32_e32 vcc, s53, v31
	v_cmp_ne_u32_e64 s[8:9], 0, v32
	v_cndmask_b32_e32 v25, v33, v25, vcc
	v_cmp_ne_u32_e32 vcc, 0, v25
	v_cndmask_b32_e64 v25, v36, v34, s[8:9]
	v_cndmask_b32_e64 v32, v37, v35, s[8:9]
	v_cndmask_b32_e32 v1, v1, v25, vcc
	v_xor_b32_e32 v25, s51, v21
	v_xor_b32_e32 v21, s50, v21
	v_cndmask_b32_e32 v19, v19, v32, vcc
	v_xor_b32_e32 v1, v1, v21
	v_xor_b32_e32 v19, v19, v25
	v_sub_co_u32_e32 v32, vcc, v1, v21
	v_subb_co_u32_e32 v33, vcc, v19, v25, vcc
.LBB11_75:                              ;   in Loop: Header=BB11_69 Depth=5
	s_andn2_saveexec_b64 s[8:9], s[48:49]
	s_cbranch_execz .LBB11_77
; %bb.76:                               ;   in Loop: Header=BB11_69 Depth=5
	v_rcp_iflag_f32_e32 v1, v15
	s_sub_i32 s29, 0, s61
	v_mov_b32_e32 v33, v0
	v_mul_f32_e32 v1, 0x4f7ffffe, v1
	v_cvt_u32_f32_e32 v1, v1
	v_mul_lo_u32 v19, s29, v1
	v_mul_hi_u32 v19, v1, v19
	v_add_u32_e32 v1, v1, v19
	v_mul_hi_u32 v1, v28, v1
	v_mul_lo_u32 v19, v1, s61
	v_sub_u32_e32 v19, v28, v19
	v_add_u32_e32 v21, 1, v1
	v_subrev_u32_e32 v25, s61, v19
	v_cmp_le_u32_e32 vcc, s61, v19
	v_cndmask_b32_e32 v19, v19, v25, vcc
	v_cndmask_b32_e32 v1, v1, v21, vcc
	v_add_u32_e32 v21, 1, v1
	v_cmp_le_u32_e32 vcc, s61, v19
	v_cndmask_b32_e32 v32, v1, v21, vcc
.LBB11_77:                              ;   in Loop: Header=BB11_69 Depth=5
	s_or_b64 exec, exec, s[8:9]
	v_mul_lo_u32 v1, v33, s61
	v_mul_lo_u32 v19, v32, s60
	v_mad_u64_u32 v[34:35], s[8:9], v32, s61, 0
	v_add3_u32 v1, v35, v19, v1
	v_sub_co_u32_e32 v19, vcc, v28, v34
	v_subb_co_u32_e32 v1, vcc, v29, v1, vcc
	v_mul_lo_u32 v1, v1, s54
	v_mul_lo_u32 v21, v19, s33
	v_mad_u64_u32 v[34:35], s[8:9], v19, s54, 0
	v_add3_u32 v35, v35, v21, v1
	v_or_b32_e32 v1, s60, v35
	v_cmp_ne_u64_e32 vcc, 0, v[0:1]
                                        ; implicit-def: $vgpr36_vgpr37
	s_and_saveexec_b64 s[8:9], vcc
	s_xor_b64 s[48:49], exec, s[8:9]
	s_cbranch_execz .LBB11_79
; %bb.78:                               ;   in Loop: Header=BB11_69 Depth=5
	s_add_u32 s8, s61, s60
	s_mov_b32 s50, s60
	s_mov_b32 s51, s60
	s_addc_u32 s9, s60, s60
	s_xor_b64 s[52:53], s[8:9], s[50:51]
	v_cvt_f32_u32_e32 v1, s52
	v_cvt_f32_u32_e32 v15, s53
	s_sub_u32 s8, 0, s52
	s_subb_u32 s9, 0, s53
	v_mac_f32_e32 v1, 0x4f800000, v15
	v_rcp_f32_e32 v1, v1
	v_mul_f32_e32 v1, 0x5f7ffffc, v1
	v_mul_f32_e32 v15, 0x2f800000, v1
	v_trunc_f32_e32 v15, v15
	v_mac_f32_e32 v1, 0xcf800000, v15
	v_cvt_u32_f32_e32 v15, v15
	v_cvt_u32_f32_e32 v1, v1
	v_mul_lo_u32 v19, s8, v15
	v_mul_hi_u32 v25, s8, v1
	v_mul_lo_u32 v21, s9, v1
	v_add_u32_e32 v19, v25, v19
	v_mul_lo_u32 v31, s8, v1
	v_add_u32_e32 v19, v19, v21
	v_mul_lo_u32 v25, v1, v19
	v_mul_hi_u32 v33, v1, v31
	v_mul_hi_u32 v21, v1, v19
	v_add_co_u32_e32 v25, vcc, v33, v25
	v_addc_co_u32_e32 v21, vcc, 0, v21, vcc
	v_mul_hi_u32 v36, v15, v31
	v_mul_lo_u32 v31, v15, v31
	v_add_co_u32_e32 v25, vcc, v25, v31
	v_mul_hi_u32 v33, v15, v19
	v_addc_co_u32_e32 v21, vcc, v21, v36, vcc
	v_addc_co_u32_e32 v25, vcc, 0, v33, vcc
	v_mul_lo_u32 v19, v15, v19
	v_add_co_u32_e32 v19, vcc, v21, v19
	v_addc_co_u32_e32 v21, vcc, 0, v25, vcc
	v_add_co_u32_e32 v1, vcc, v1, v19
	v_addc_co_u32_e32 v15, vcc, v15, v21, vcc
	v_mul_lo_u32 v19, s8, v15
	v_mul_hi_u32 v21, s8, v1
	v_add_u32_e32 v19, v21, v19
	v_mul_lo_u32 v21, s9, v1
	v_add_u32_e32 v19, v19, v21
	v_mul_lo_u32 v25, s8, v1
	v_mul_hi_u32 v31, v15, v25
	v_mul_lo_u32 v33, v15, v25
	v_mul_lo_u32 v37, v1, v19
	v_mul_hi_u32 v25, v1, v25
	v_mul_hi_u32 v36, v1, v19
	v_add_co_u32_e32 v25, vcc, v25, v37
	v_addc_co_u32_e32 v36, vcc, 0, v36, vcc
	v_add_co_u32_e32 v25, vcc, v25, v33
	v_mul_hi_u32 v21, v15, v19
	v_addc_co_u32_e32 v25, vcc, v36, v31, vcc
	v_addc_co_u32_e32 v21, vcc, 0, v21, vcc
	v_mul_lo_u32 v19, v15, v19
	v_add_co_u32_e32 v19, vcc, v25, v19
	v_addc_co_u32_e32 v21, vcc, 0, v21, vcc
	v_add_co_u32_e32 v1, vcc, v1, v19
	v_addc_co_u32_e32 v15, vcc, v15, v21, vcc
	v_ashrrev_i32_e32 v19, 31, v35
	v_add_co_u32_e32 v21, vcc, v34, v19
	v_xor_b32_e32 v21, v21, v19
	v_addc_co_u32_e32 v25, vcc, v35, v19, vcc
	v_mad_u64_u32 v[34:35], s[8:9], v21, v15, 0
	v_mul_hi_u32 v31, v21, v1
	v_xor_b32_e32 v25, v25, v19
	v_add_co_u32_e32 v31, vcc, v31, v34
	v_addc_co_u32_e32 v33, vcc, 0, v35, vcc
	v_mad_u64_u32 v[36:37], s[8:9], v25, v1, 0
	v_add_co_u32_e32 v1, vcc, v31, v36
	v_mad_u64_u32 v[34:35], s[8:9], v25, v15, 0
	v_addc_co_u32_e32 v1, vcc, v33, v37, vcc
	v_addc_co_u32_e32 v15, vcc, 0, v35, vcc
	v_add_co_u32_e32 v1, vcc, v1, v34
	v_addc_co_u32_e32 v15, vcc, 0, v15, vcc
	v_mul_lo_u32 v31, s53, v1
	v_mul_lo_u32 v15, s52, v15
	v_mad_u64_u32 v[34:35], s[8:9], s52, v1, 0
	v_add3_u32 v15, v35, v15, v31
	v_sub_u32_e32 v31, v25, v15
	v_mov_b32_e32 v33, s53
	v_sub_co_u32_e32 v21, vcc, v21, v34
	v_subb_co_u32_e64 v31, s[8:9], v31, v33, vcc
	v_subrev_co_u32_e64 v33, s[8:9], s52, v21
	v_subbrev_co_u32_e64 v31, s[8:9], 0, v31, s[8:9]
	v_cmp_le_u32_e64 s[8:9], s53, v31
	v_subb_co_u32_e32 v15, vcc, v25, v15, vcc
	v_cndmask_b32_e64 v34, 0, -1, s[8:9]
	v_cmp_le_u32_e64 s[8:9], s52, v33
	v_cmp_le_u32_e32 vcc, s53, v15
	v_cndmask_b32_e64 v33, 0, -1, s[8:9]
	v_cmp_eq_u32_e64 s[8:9], s53, v31
	v_cndmask_b32_e64 v25, 0, -1, vcc
	v_cmp_le_u32_e32 vcc, s52, v21
	v_cndmask_b32_e64 v31, v34, v33, s[8:9]
	v_cndmask_b32_e64 v21, 0, -1, vcc
	v_cmp_eq_u32_e32 vcc, s53, v15
	v_add_co_u32_e64 v33, s[8:9], 2, v1
	v_add_co_u32_e64 v34, s[8:9], 1, v1
	v_cndmask_b32_e32 v15, v25, v21, vcc
	v_cmp_ne_u32_e32 vcc, 0, v31
	v_cndmask_b32_e32 v21, v34, v33, vcc
	v_cmp_ne_u32_e32 vcc, 0, v15
	v_cndmask_b32_e32 v1, v1, v21, vcc
	v_xor_b32_e32 v15, s50, v19
	v_xor_b32_e32 v1, v1, v15
	v_sub_co_u32_e32 v36, vcc, v1, v15
                                        ; implicit-def: $vgpr15
                                        ; implicit-def: $vgpr34_vgpr35
.LBB11_79:                              ;   in Loop: Header=BB11_69 Depth=5
	s_andn2_saveexec_b64 s[8:9], s[48:49]
	s_cbranch_execz .LBB11_68
; %bb.80:                               ;   in Loop: Header=BB11_69 Depth=5
	v_rcp_iflag_f32_e32 v1, v15
	s_sub_i32 s29, 0, s61
	v_mul_f32_e32 v1, 0x4f7ffffe, v1
	v_cvt_u32_f32_e32 v1, v1
	v_mul_lo_u32 v15, s29, v1
	v_mul_hi_u32 v15, v1, v15
	v_add_u32_e32 v1, v1, v15
	v_mul_hi_u32 v1, v34, v1
	v_mul_lo_u32 v15, v1, s61
	v_sub_u32_e32 v15, v34, v15
	v_add_u32_e32 v19, 1, v1
	v_subrev_u32_e32 v21, s61, v15
	v_cmp_le_u32_e32 vcc, s61, v15
	v_cndmask_b32_e32 v15, v15, v21, vcc
	v_cndmask_b32_e32 v1, v1, v19, vcc
	v_add_u32_e32 v19, 1, v1
	v_cmp_le_u32_e32 vcc, s61, v15
	v_cndmask_b32_e32 v36, v1, v19, vcc
	s_branch .LBB11_68
.LBB11_81:                              ;   in Loop: Header=BB11_42 Depth=3
                                        ; implicit-def: $vgpr18_vgpr19
	v_cvt_f32_u32_e32 v1, s18
	s_branch .LBB11_44
.LBB11_82:                              ;   in Loop: Header=BB11_42 Depth=3
                                        ; implicit-def: $sgpr42_sgpr43
	s_branch .LBB11_47
.LBB11_83:                              ;   in Loop: Header=BB11_42 Depth=3
                                        ; implicit-def: $vgpr20_vgpr21
	s_branch .LBB11_50
.LBB11_84:
	s_endpgm
.LBB11_85:
                                        ; implicit-def: $sgpr8_sgpr9
	v_cvt_f32_u32_e32 v1, s10
	s_branch .LBB11_2
.LBB11_86:
                                        ; implicit-def: $sgpr20_sgpr21
	s_branch .LBB11_5
.LBB11_87:
                                        ; implicit-def: $vgpr4_vgpr5
	s_load_dword s0, s[4:5], 0x3c
	s_andn2_b64 vcc, exec, s[24:25]
	s_cbranch_vccz .LBB11_8
	s_branch .LBB11_9
	.section	.rodata,"a",@progbits
	.p2align	6, 0x0
	.amdhsa_kernel _ZN2at6native12_GLOBAL__N_124adaptiveaveragegradinputIN3c108BFloat16EfEEvPT_PKS5_iiiiiil
		.amdhsa_group_segment_fixed_size 0
		.amdhsa_private_segment_fixed_size 0
		.amdhsa_kernarg_size 304
		.amdhsa_user_sgpr_count 6
		.amdhsa_user_sgpr_private_segment_buffer 1
		.amdhsa_user_sgpr_dispatch_ptr 0
		.amdhsa_user_sgpr_queue_ptr 0
		.amdhsa_user_sgpr_kernarg_segment_ptr 1
		.amdhsa_user_sgpr_dispatch_id 0
		.amdhsa_user_sgpr_flat_scratch_init 0
		.amdhsa_user_sgpr_kernarg_preload_length 0
		.amdhsa_user_sgpr_kernarg_preload_offset 0
		.amdhsa_user_sgpr_private_segment_size 0
		.amdhsa_uses_dynamic_stack 0
		.amdhsa_system_sgpr_private_segment_wavefront_offset 0
		.amdhsa_system_sgpr_workgroup_id_x 1
		.amdhsa_system_sgpr_workgroup_id_y 1
		.amdhsa_system_sgpr_workgroup_id_z 0
		.amdhsa_system_sgpr_workgroup_info 0
		.amdhsa_system_vgpr_workitem_id 1
		.amdhsa_next_free_vgpr 46
		.amdhsa_next_free_sgpr 65
		.amdhsa_accum_offset 48
		.amdhsa_reserve_vcc 1
		.amdhsa_reserve_flat_scratch 0
		.amdhsa_float_round_mode_32 0
		.amdhsa_float_round_mode_16_64 0
		.amdhsa_float_denorm_mode_32 3
		.amdhsa_float_denorm_mode_16_64 3
		.amdhsa_dx10_clamp 1
		.amdhsa_ieee_mode 1
		.amdhsa_fp16_overflow 0
		.amdhsa_tg_split 0
		.amdhsa_exception_fp_ieee_invalid_op 0
		.amdhsa_exception_fp_denorm_src 0
		.amdhsa_exception_fp_ieee_div_zero 0
		.amdhsa_exception_fp_ieee_overflow 0
		.amdhsa_exception_fp_ieee_underflow 0
		.amdhsa_exception_fp_ieee_inexact 0
		.amdhsa_exception_int_div_zero 0
	.end_amdhsa_kernel
	.section	.text._ZN2at6native12_GLOBAL__N_124adaptiveaveragegradinputIN3c108BFloat16EfEEvPT_PKS5_iiiiiil,"axG",@progbits,_ZN2at6native12_GLOBAL__N_124adaptiveaveragegradinputIN3c108BFloat16EfEEvPT_PKS5_iiiiiil,comdat
.Lfunc_end11:
	.size	_ZN2at6native12_GLOBAL__N_124adaptiveaveragegradinputIN3c108BFloat16EfEEvPT_PKS5_iiiiiil, .Lfunc_end11-_ZN2at6native12_GLOBAL__N_124adaptiveaveragegradinputIN3c108BFloat16EfEEvPT_PKS5_iiiiiil
                                        ; -- End function
	.section	.AMDGPU.csdata,"",@progbits
; Kernel info:
; codeLenInByte = 14444
; NumSgprs: 69
; NumVgprs: 46
; NumAgprs: 0
; TotalNumVgprs: 46
; ScratchSize: 0
; MemoryBound: 0
; FloatMode: 240
; IeeeMode: 1
; LDSByteSize: 0 bytes/workgroup (compile time only)
; SGPRBlocks: 8
; VGPRBlocks: 5
; NumSGPRsForWavesPerEU: 69
; NumVGPRsForWavesPerEU: 46
; AccumOffset: 48
; Occupancy: 8
; WaveLimiterHint : 0
; COMPUTE_PGM_RSRC2:SCRATCH_EN: 0
; COMPUTE_PGM_RSRC2:USER_SGPR: 6
; COMPUTE_PGM_RSRC2:TRAP_HANDLER: 0
; COMPUTE_PGM_RSRC2:TGID_X_EN: 1
; COMPUTE_PGM_RSRC2:TGID_Y_EN: 1
; COMPUTE_PGM_RSRC2:TGID_Z_EN: 0
; COMPUTE_PGM_RSRC2:TIDIG_COMP_CNT: 1
; COMPUTE_PGM_RSRC3_GFX90A:ACCUM_OFFSET: 11
; COMPUTE_PGM_RSRC3_GFX90A:TG_SPLIT: 0
	.text
	.p2alignl 6, 3212836864
	.fill 256, 4, 3212836864
	.type	__hip_cuid_b2e9d3684e7be1c6,@object ; @__hip_cuid_b2e9d3684e7be1c6
	.section	.bss,"aw",@nobits
	.globl	__hip_cuid_b2e9d3684e7be1c6
__hip_cuid_b2e9d3684e7be1c6:
	.byte	0                               ; 0x0
	.size	__hip_cuid_b2e9d3684e7be1c6, 1

	.ident	"AMD clang version 19.0.0git (https://github.com/RadeonOpenCompute/llvm-project roc-6.4.0 25133 c7fe45cf4b819c5991fe208aaa96edf142730f1d)"
	.section	".note.GNU-stack","",@progbits
	.addrsig
	.addrsig_sym __hip_cuid_b2e9d3684e7be1c6
	.amdgpu_metadata
---
amdhsa.kernels:
  - .agpr_count:     0
    .args:
      - .address_space:  global
        .offset:         0
        .size:           8
        .value_kind:     global_buffer
      - .address_space:  global
        .offset:         8
        .size:           8
        .value_kind:     global_buffer
      - .offset:         16
        .size:           4
        .value_kind:     by_value
      - .offset:         20
        .size:           4
        .value_kind:     by_value
      - .offset:         24
        .size:           4
        .value_kind:     by_value
      - .offset:         28
        .size:           4
        .value_kind:     by_value
      - .offset:         32
        .size:           4
        .value_kind:     by_value
      - .offset:         36
        .size:           4
        .value_kind:     by_value
      - .offset:         40
        .size:           8
        .value_kind:     by_value
      - .offset:         48
        .size:           8
        .value_kind:     by_value
      - .offset:         56
        .size:           8
        .value_kind:     by_value
      - .offset:         64
        .size:           8
        .value_kind:     by_value
      - .offset:         72
        .size:           8
        .value_kind:     by_value
      - .offset:         80
        .size:           8
        .value_kind:     by_value
      - .offset:         88
        .size:           8
        .value_kind:     by_value
      - .offset:         96
        .size:           4
        .value_kind:     hidden_block_count_x
      - .offset:         100
        .size:           4
        .value_kind:     hidden_block_count_y
      - .offset:         104
        .size:           4
        .value_kind:     hidden_block_count_z
      - .offset:         108
        .size:           2
        .value_kind:     hidden_group_size_x
      - .offset:         110
        .size:           2
        .value_kind:     hidden_group_size_y
      - .offset:         112
        .size:           2
        .value_kind:     hidden_group_size_z
      - .offset:         114
        .size:           2
        .value_kind:     hidden_remainder_x
      - .offset:         116
        .size:           2
        .value_kind:     hidden_remainder_y
      - .offset:         118
        .size:           2
        .value_kind:     hidden_remainder_z
      - .offset:         136
        .size:           8
        .value_kind:     hidden_global_offset_x
      - .offset:         144
        .size:           8
        .value_kind:     hidden_global_offset_y
      - .offset:         152
        .size:           8
        .value_kind:     hidden_global_offset_z
      - .offset:         160
        .size:           2
        .value_kind:     hidden_grid_dims
    .group_segment_fixed_size: 0
    .kernarg_segment_align: 8
    .kernarg_segment_size: 352
    .language:       OpenCL C
    .language_version:
      - 2
      - 0
    .max_flat_workgroup_size: 1024
    .name:           _ZN2at6native12_GLOBAL__N_119adaptiveaveragepoolIddEEvPKT_PS3_iiiiiilllllll
    .private_segment_fixed_size: 0
    .sgpr_count:     54
    .sgpr_spill_count: 0
    .symbol:         _ZN2at6native12_GLOBAL__N_119adaptiveaveragepoolIddEEvPKT_PS3_iiiiiilllllll.kd
    .uniform_work_group_size: 1
    .uses_dynamic_stack: false
    .vgpr_count:     28
    .vgpr_spill_count: 0
    .wavefront_size: 64
  - .agpr_count:     0
    .args:
      - .address_space:  global
        .offset:         0
        .size:           8
        .value_kind:     global_buffer
      - .address_space:  global
        .offset:         8
        .size:           8
        .value_kind:     global_buffer
      - .offset:         16
        .size:           4
        .value_kind:     by_value
      - .offset:         20
        .size:           4
        .value_kind:     by_value
      - .offset:         24
        .size:           4
        .value_kind:     by_value
      - .offset:         28
        .size:           4
        .value_kind:     by_value
      - .offset:         32
        .size:           4
        .value_kind:     by_value
      - .offset:         36
        .size:           4
        .value_kind:     by_value
      - .offset:         40
        .size:           8
        .value_kind:     by_value
      - .offset:         48
        .size:           8
        .value_kind:     by_value
      - .offset:         56
        .size:           8
        .value_kind:     by_value
      - .offset:         64
        .size:           8
        .value_kind:     by_value
      - .offset:         72
        .size:           8
        .value_kind:     by_value
      - .offset:         80
        .size:           8
        .value_kind:     by_value
      - .offset:         88
        .size:           8
        .value_kind:     by_value
      - .offset:         96
        .size:           4
        .value_kind:     hidden_block_count_x
      - .offset:         100
        .size:           4
        .value_kind:     hidden_block_count_y
      - .offset:         104
        .size:           4
        .value_kind:     hidden_block_count_z
      - .offset:         108
        .size:           2
        .value_kind:     hidden_group_size_x
      - .offset:         110
        .size:           2
        .value_kind:     hidden_group_size_y
      - .offset:         112
        .size:           2
        .value_kind:     hidden_group_size_z
      - .offset:         114
        .size:           2
        .value_kind:     hidden_remainder_x
      - .offset:         116
        .size:           2
        .value_kind:     hidden_remainder_y
      - .offset:         118
        .size:           2
        .value_kind:     hidden_remainder_z
      - .offset:         136
        .size:           8
        .value_kind:     hidden_global_offset_x
      - .offset:         144
        .size:           8
        .value_kind:     hidden_global_offset_y
      - .offset:         152
        .size:           8
        .value_kind:     hidden_global_offset_z
      - .offset:         160
        .size:           2
        .value_kind:     hidden_grid_dims
    .group_segment_fixed_size: 0
    .kernarg_segment_align: 8
    .kernarg_segment_size: 352
    .language:       OpenCL C
    .language_version:
      - 2
      - 0
    .max_flat_workgroup_size: 1024
    .name:           _ZN2at6native12_GLOBAL__N_119adaptiveaveragepoolIffEEvPKT_PS3_iiiiiilllllll
    .private_segment_fixed_size: 0
    .sgpr_count:     54
    .sgpr_spill_count: 0
    .symbol:         _ZN2at6native12_GLOBAL__N_119adaptiveaveragepoolIffEEvPKT_PS3_iiiiiilllllll.kd
    .uniform_work_group_size: 1
    .uses_dynamic_stack: false
    .vgpr_count:     26
    .vgpr_spill_count: 0
    .wavefront_size: 64
  - .agpr_count:     0
    .args:
      - .address_space:  global
        .offset:         0
        .size:           8
        .value_kind:     global_buffer
      - .address_space:  global
        .offset:         8
        .size:           8
        .value_kind:     global_buffer
      - .offset:         16
        .size:           4
        .value_kind:     by_value
      - .offset:         20
        .size:           4
        .value_kind:     by_value
      - .offset:         24
        .size:           4
        .value_kind:     by_value
      - .offset:         28
        .size:           4
        .value_kind:     by_value
      - .offset:         32
        .size:           4
        .value_kind:     by_value
      - .offset:         36
        .size:           4
        .value_kind:     by_value
      - .offset:         40
        .size:           8
        .value_kind:     by_value
      - .offset:         48
        .size:           8
        .value_kind:     by_value
      - .offset:         56
        .size:           8
        .value_kind:     by_value
      - .offset:         64
        .size:           8
        .value_kind:     by_value
      - .offset:         72
        .size:           8
        .value_kind:     by_value
      - .offset:         80
        .size:           8
        .value_kind:     by_value
      - .offset:         88
        .size:           8
        .value_kind:     by_value
      - .offset:         96
        .size:           4
        .value_kind:     hidden_block_count_x
      - .offset:         100
        .size:           4
        .value_kind:     hidden_block_count_y
      - .offset:         104
        .size:           4
        .value_kind:     hidden_block_count_z
      - .offset:         108
        .size:           2
        .value_kind:     hidden_group_size_x
      - .offset:         110
        .size:           2
        .value_kind:     hidden_group_size_y
      - .offset:         112
        .size:           2
        .value_kind:     hidden_group_size_z
      - .offset:         114
        .size:           2
        .value_kind:     hidden_remainder_x
      - .offset:         116
        .size:           2
        .value_kind:     hidden_remainder_y
      - .offset:         118
        .size:           2
        .value_kind:     hidden_remainder_z
      - .offset:         136
        .size:           8
        .value_kind:     hidden_global_offset_x
      - .offset:         144
        .size:           8
        .value_kind:     hidden_global_offset_y
      - .offset:         152
        .size:           8
        .value_kind:     hidden_global_offset_z
      - .offset:         160
        .size:           2
        .value_kind:     hidden_grid_dims
    .group_segment_fixed_size: 0
    .kernarg_segment_align: 8
    .kernarg_segment_size: 352
    .language:       OpenCL C
    .language_version:
      - 2
      - 0
    .max_flat_workgroup_size: 1024
    .name:           _ZN2at6native12_GLOBAL__N_119adaptiveaveragepoolIN3c104HalfEfEEvPKT_PS5_iiiiiilllllll
    .private_segment_fixed_size: 0
    .sgpr_count:     54
    .sgpr_spill_count: 0
    .symbol:         _ZN2at6native12_GLOBAL__N_119adaptiveaveragepoolIN3c104HalfEfEEvPKT_PS5_iiiiiilllllll.kd
    .uniform_work_group_size: 1
    .uses_dynamic_stack: false
    .vgpr_count:     26
    .vgpr_spill_count: 0
    .wavefront_size: 64
  - .agpr_count:     0
    .args:
      - .address_space:  global
        .offset:         0
        .size:           8
        .value_kind:     global_buffer
      - .address_space:  global
        .offset:         8
        .size:           8
        .value_kind:     global_buffer
      - .offset:         16
        .size:           4
        .value_kind:     by_value
      - .offset:         20
        .size:           4
        .value_kind:     by_value
      - .offset:         24
        .size:           4
        .value_kind:     by_value
      - .offset:         28
        .size:           4
        .value_kind:     by_value
      - .offset:         32
        .size:           4
        .value_kind:     by_value
      - .offset:         36
        .size:           4
        .value_kind:     by_value
      - .offset:         40
        .size:           8
        .value_kind:     by_value
      - .offset:         48
        .size:           8
        .value_kind:     by_value
      - .offset:         56
        .size:           8
        .value_kind:     by_value
      - .offset:         64
        .size:           8
        .value_kind:     by_value
      - .offset:         72
        .size:           8
        .value_kind:     by_value
      - .offset:         80
        .size:           8
        .value_kind:     by_value
      - .offset:         88
        .size:           8
        .value_kind:     by_value
      - .offset:         96
        .size:           4
        .value_kind:     hidden_block_count_x
      - .offset:         100
        .size:           4
        .value_kind:     hidden_block_count_y
      - .offset:         104
        .size:           4
        .value_kind:     hidden_block_count_z
      - .offset:         108
        .size:           2
        .value_kind:     hidden_group_size_x
      - .offset:         110
        .size:           2
        .value_kind:     hidden_group_size_y
      - .offset:         112
        .size:           2
        .value_kind:     hidden_group_size_z
      - .offset:         114
        .size:           2
        .value_kind:     hidden_remainder_x
      - .offset:         116
        .size:           2
        .value_kind:     hidden_remainder_y
      - .offset:         118
        .size:           2
        .value_kind:     hidden_remainder_z
      - .offset:         136
        .size:           8
        .value_kind:     hidden_global_offset_x
      - .offset:         144
        .size:           8
        .value_kind:     hidden_global_offset_y
      - .offset:         152
        .size:           8
        .value_kind:     hidden_global_offset_z
      - .offset:         160
        .size:           2
        .value_kind:     hidden_grid_dims
    .group_segment_fixed_size: 0
    .kernarg_segment_align: 8
    .kernarg_segment_size: 352
    .language:       OpenCL C
    .language_version:
      - 2
      - 0
    .max_flat_workgroup_size: 1024
    .name:           _ZN2at6native12_GLOBAL__N_119adaptiveaveragepoolIN3c108BFloat16EfEEvPKT_PS5_iiiiiilllllll
    .private_segment_fixed_size: 0
    .sgpr_count:     56
    .sgpr_spill_count: 0
    .symbol:         _ZN2at6native12_GLOBAL__N_119adaptiveaveragepoolIN3c108BFloat16EfEEvPKT_PS5_iiiiiilllllll.kd
    .uniform_work_group_size: 1
    .uses_dynamic_stack: false
    .vgpr_count:     27
    .vgpr_spill_count: 0
    .wavefront_size: 64
  - .agpr_count:     0
    .args:
      - .address_space:  global
        .offset:         0
        .size:           8
        .value_kind:     global_buffer
      - .address_space:  global
        .offset:         8
        .size:           8
        .value_kind:     global_buffer
      - .offset:         16
        .size:           4
        .value_kind:     by_value
      - .offset:         20
        .size:           4
        .value_kind:     by_value
      - .offset:         24
        .size:           4
        .value_kind:     by_value
      - .offset:         28
        .size:           4
        .value_kind:     by_value
      - .offset:         32
        .size:           4
        .value_kind:     by_value
      - .offset:         36
        .size:           4
        .value_kind:     by_value
      - .offset:         40
        .size:           8
        .value_kind:     by_value
      - .offset:         48
        .size:           4
        .value_kind:     hidden_block_count_x
      - .offset:         52
        .size:           4
        .value_kind:     hidden_block_count_y
      - .offset:         56
        .size:           4
        .value_kind:     hidden_block_count_z
      - .offset:         60
        .size:           2
        .value_kind:     hidden_group_size_x
      - .offset:         62
        .size:           2
        .value_kind:     hidden_group_size_y
      - .offset:         64
        .size:           2
        .value_kind:     hidden_group_size_z
      - .offset:         66
        .size:           2
        .value_kind:     hidden_remainder_x
      - .offset:         68
        .size:           2
        .value_kind:     hidden_remainder_y
      - .offset:         70
        .size:           2
        .value_kind:     hidden_remainder_z
      - .offset:         88
        .size:           8
        .value_kind:     hidden_global_offset_x
      - .offset:         96
        .size:           8
        .value_kind:     hidden_global_offset_y
      - .offset:         104
        .size:           8
        .value_kind:     hidden_global_offset_z
      - .offset:         112
        .size:           2
        .value_kind:     hidden_grid_dims
    .group_segment_fixed_size: 0
    .kernarg_segment_align: 8
    .kernarg_segment_size: 304
    .language:       OpenCL C
    .language_version:
      - 2
      - 0
    .max_flat_workgroup_size: 1024
    .name:           _ZN2at6native12_GLOBAL__N_130atomicadaptiveaveragegradinputIdEEvPT_PKS3_iiiiiil
    .private_segment_fixed_size: 0
    .sgpr_count:     52
    .sgpr_spill_count: 0
    .symbol:         _ZN2at6native12_GLOBAL__N_130atomicadaptiveaveragegradinputIdEEvPT_PKS3_iiiiiil.kd
    .uniform_work_group_size: 1
    .uses_dynamic_stack: false
    .vgpr_count:     36
    .vgpr_spill_count: 0
    .wavefront_size: 64
  - .agpr_count:     0
    .args:
      - .address_space:  global
        .offset:         0
        .size:           8
        .value_kind:     global_buffer
      - .address_space:  global
        .offset:         8
        .size:           8
        .value_kind:     global_buffer
      - .offset:         16
        .size:           4
        .value_kind:     by_value
      - .offset:         20
        .size:           4
        .value_kind:     by_value
      - .offset:         24
        .size:           4
        .value_kind:     by_value
      - .offset:         28
        .size:           4
        .value_kind:     by_value
      - .offset:         32
        .size:           4
        .value_kind:     by_value
      - .offset:         36
        .size:           4
        .value_kind:     by_value
      - .offset:         40
        .size:           8
        .value_kind:     by_value
      - .offset:         48
        .size:           4
        .value_kind:     hidden_block_count_x
      - .offset:         52
        .size:           4
        .value_kind:     hidden_block_count_y
      - .offset:         56
        .size:           4
        .value_kind:     hidden_block_count_z
      - .offset:         60
        .size:           2
        .value_kind:     hidden_group_size_x
      - .offset:         62
        .size:           2
        .value_kind:     hidden_group_size_y
      - .offset:         64
        .size:           2
        .value_kind:     hidden_group_size_z
      - .offset:         66
        .size:           2
        .value_kind:     hidden_remainder_x
      - .offset:         68
        .size:           2
        .value_kind:     hidden_remainder_y
      - .offset:         70
        .size:           2
        .value_kind:     hidden_remainder_z
      - .offset:         88
        .size:           8
        .value_kind:     hidden_global_offset_x
      - .offset:         96
        .size:           8
        .value_kind:     hidden_global_offset_y
      - .offset:         104
        .size:           8
        .value_kind:     hidden_global_offset_z
      - .offset:         112
        .size:           2
        .value_kind:     hidden_grid_dims
    .group_segment_fixed_size: 0
    .kernarg_segment_align: 8
    .kernarg_segment_size: 304
    .language:       OpenCL C
    .language_version:
      - 2
      - 0
    .max_flat_workgroup_size: 1024
    .name:           _ZN2at6native12_GLOBAL__N_130atomicadaptiveaveragegradinputIfEEvPT_PKS3_iiiiiil
    .private_segment_fixed_size: 0
    .sgpr_count:     52
    .sgpr_spill_count: 0
    .symbol:         _ZN2at6native12_GLOBAL__N_130atomicadaptiveaveragegradinputIfEEvPT_PKS3_iiiiiil.kd
    .uniform_work_group_size: 1
    .uses_dynamic_stack: false
    .vgpr_count:     31
    .vgpr_spill_count: 0
    .wavefront_size: 64
  - .agpr_count:     0
    .args:
      - .address_space:  global
        .offset:         0
        .size:           8
        .value_kind:     global_buffer
      - .address_space:  global
        .offset:         8
        .size:           8
        .value_kind:     global_buffer
      - .offset:         16
        .size:           4
        .value_kind:     by_value
      - .offset:         20
        .size:           4
        .value_kind:     by_value
      - .offset:         24
        .size:           4
        .value_kind:     by_value
      - .offset:         28
        .size:           4
        .value_kind:     by_value
      - .offset:         32
        .size:           4
        .value_kind:     by_value
      - .offset:         36
        .size:           4
        .value_kind:     by_value
      - .offset:         40
        .size:           8
        .value_kind:     by_value
      - .offset:         48
        .size:           4
        .value_kind:     hidden_block_count_x
      - .offset:         52
        .size:           4
        .value_kind:     hidden_block_count_y
      - .offset:         56
        .size:           4
        .value_kind:     hidden_block_count_z
      - .offset:         60
        .size:           2
        .value_kind:     hidden_group_size_x
      - .offset:         62
        .size:           2
        .value_kind:     hidden_group_size_y
      - .offset:         64
        .size:           2
        .value_kind:     hidden_group_size_z
      - .offset:         66
        .size:           2
        .value_kind:     hidden_remainder_x
      - .offset:         68
        .size:           2
        .value_kind:     hidden_remainder_y
      - .offset:         70
        .size:           2
        .value_kind:     hidden_remainder_z
      - .offset:         88
        .size:           8
        .value_kind:     hidden_global_offset_x
      - .offset:         96
        .size:           8
        .value_kind:     hidden_global_offset_y
      - .offset:         104
        .size:           8
        .value_kind:     hidden_global_offset_z
      - .offset:         112
        .size:           2
        .value_kind:     hidden_grid_dims
    .group_segment_fixed_size: 0
    .kernarg_segment_align: 8
    .kernarg_segment_size: 304
    .language:       OpenCL C
    .language_version:
      - 2
      - 0
    .max_flat_workgroup_size: 1024
    .name:           _ZN2at6native12_GLOBAL__N_130atomicadaptiveaveragegradinputIN3c104HalfEEEvPT_PKS5_iiiiiil
    .private_segment_fixed_size: 0
    .sgpr_count:     57
    .sgpr_spill_count: 0
    .symbol:         _ZN2at6native12_GLOBAL__N_130atomicadaptiveaveragegradinputIN3c104HalfEEEvPT_PKS5_iiiiiil.kd
    .uniform_work_group_size: 1
    .uses_dynamic_stack: false
    .vgpr_count:     32
    .vgpr_spill_count: 0
    .wavefront_size: 64
  - .agpr_count:     0
    .args:
      - .address_space:  global
        .offset:         0
        .size:           8
        .value_kind:     global_buffer
      - .address_space:  global
        .offset:         8
        .size:           8
        .value_kind:     global_buffer
      - .offset:         16
        .size:           4
        .value_kind:     by_value
      - .offset:         20
        .size:           4
        .value_kind:     by_value
      - .offset:         24
        .size:           4
        .value_kind:     by_value
      - .offset:         28
        .size:           4
        .value_kind:     by_value
      - .offset:         32
        .size:           4
        .value_kind:     by_value
      - .offset:         36
        .size:           4
        .value_kind:     by_value
      - .offset:         40
        .size:           8
        .value_kind:     by_value
      - .offset:         48
        .size:           4
        .value_kind:     hidden_block_count_x
      - .offset:         52
        .size:           4
        .value_kind:     hidden_block_count_y
      - .offset:         56
        .size:           4
        .value_kind:     hidden_block_count_z
      - .offset:         60
        .size:           2
        .value_kind:     hidden_group_size_x
      - .offset:         62
        .size:           2
        .value_kind:     hidden_group_size_y
      - .offset:         64
        .size:           2
        .value_kind:     hidden_group_size_z
      - .offset:         66
        .size:           2
        .value_kind:     hidden_remainder_x
      - .offset:         68
        .size:           2
        .value_kind:     hidden_remainder_y
      - .offset:         70
        .size:           2
        .value_kind:     hidden_remainder_z
      - .offset:         88
        .size:           8
        .value_kind:     hidden_global_offset_x
      - .offset:         96
        .size:           8
        .value_kind:     hidden_global_offset_y
      - .offset:         104
        .size:           8
        .value_kind:     hidden_global_offset_z
      - .offset:         112
        .size:           2
        .value_kind:     hidden_grid_dims
    .group_segment_fixed_size: 0
    .kernarg_segment_align: 8
    .kernarg_segment_size: 304
    .language:       OpenCL C
    .language_version:
      - 2
      - 0
    .max_flat_workgroup_size: 1024
    .name:           _ZN2at6native12_GLOBAL__N_130atomicadaptiveaveragegradinputIN3c108BFloat16EEEvPT_PKS5_iiiiiil
    .private_segment_fixed_size: 0
    .sgpr_count:     57
    .sgpr_spill_count: 0
    .symbol:         _ZN2at6native12_GLOBAL__N_130atomicadaptiveaveragegradinputIN3c108BFloat16EEEvPT_PKS5_iiiiiil.kd
    .uniform_work_group_size: 1
    .uses_dynamic_stack: false
    .vgpr_count:     33
    .vgpr_spill_count: 0
    .wavefront_size: 64
  - .agpr_count:     0
    .args:
      - .address_space:  global
        .offset:         0
        .size:           8
        .value_kind:     global_buffer
      - .address_space:  global
        .offset:         8
        .size:           8
        .value_kind:     global_buffer
      - .offset:         16
        .size:           4
        .value_kind:     by_value
      - .offset:         20
        .size:           4
        .value_kind:     by_value
      - .offset:         24
        .size:           4
        .value_kind:     by_value
      - .offset:         28
        .size:           4
        .value_kind:     by_value
      - .offset:         32
        .size:           4
        .value_kind:     by_value
      - .offset:         36
        .size:           4
        .value_kind:     by_value
      - .offset:         40
        .size:           8
        .value_kind:     by_value
      - .offset:         48
        .size:           4
        .value_kind:     hidden_block_count_x
      - .offset:         52
        .size:           4
        .value_kind:     hidden_block_count_y
      - .offset:         56
        .size:           4
        .value_kind:     hidden_block_count_z
      - .offset:         60
        .size:           2
        .value_kind:     hidden_group_size_x
      - .offset:         62
        .size:           2
        .value_kind:     hidden_group_size_y
      - .offset:         64
        .size:           2
        .value_kind:     hidden_group_size_z
      - .offset:         66
        .size:           2
        .value_kind:     hidden_remainder_x
      - .offset:         68
        .size:           2
        .value_kind:     hidden_remainder_y
      - .offset:         70
        .size:           2
        .value_kind:     hidden_remainder_z
      - .offset:         88
        .size:           8
        .value_kind:     hidden_global_offset_x
      - .offset:         96
        .size:           8
        .value_kind:     hidden_global_offset_y
      - .offset:         104
        .size:           8
        .value_kind:     hidden_global_offset_z
      - .offset:         112
        .size:           2
        .value_kind:     hidden_grid_dims
    .group_segment_fixed_size: 0
    .kernarg_segment_align: 8
    .kernarg_segment_size: 304
    .language:       OpenCL C
    .language_version:
      - 2
      - 0
    .max_flat_workgroup_size: 1024
    .name:           _ZN2at6native12_GLOBAL__N_124adaptiveaveragegradinputIddEEvPT_PKS3_iiiiiil
    .private_segment_fixed_size: 0
    .sgpr_count:     68
    .sgpr_spill_count: 0
    .symbol:         _ZN2at6native12_GLOBAL__N_124adaptiveaveragegradinputIddEEvPT_PKS3_iiiiiil.kd
    .uniform_work_group_size: 1
    .uses_dynamic_stack: false
    .vgpr_count:     50
    .vgpr_spill_count: 0
    .wavefront_size: 64
  - .agpr_count:     0
    .args:
      - .address_space:  global
        .offset:         0
        .size:           8
        .value_kind:     global_buffer
      - .address_space:  global
        .offset:         8
        .size:           8
        .value_kind:     global_buffer
      - .offset:         16
        .size:           4
        .value_kind:     by_value
      - .offset:         20
        .size:           4
        .value_kind:     by_value
      - .offset:         24
        .size:           4
        .value_kind:     by_value
      - .offset:         28
        .size:           4
        .value_kind:     by_value
      - .offset:         32
        .size:           4
        .value_kind:     by_value
      - .offset:         36
        .size:           4
        .value_kind:     by_value
      - .offset:         40
        .size:           8
        .value_kind:     by_value
      - .offset:         48
        .size:           4
        .value_kind:     hidden_block_count_x
      - .offset:         52
        .size:           4
        .value_kind:     hidden_block_count_y
      - .offset:         56
        .size:           4
        .value_kind:     hidden_block_count_z
      - .offset:         60
        .size:           2
        .value_kind:     hidden_group_size_x
      - .offset:         62
        .size:           2
        .value_kind:     hidden_group_size_y
      - .offset:         64
        .size:           2
        .value_kind:     hidden_group_size_z
      - .offset:         66
        .size:           2
        .value_kind:     hidden_remainder_x
      - .offset:         68
        .size:           2
        .value_kind:     hidden_remainder_y
      - .offset:         70
        .size:           2
        .value_kind:     hidden_remainder_z
      - .offset:         88
        .size:           8
        .value_kind:     hidden_global_offset_x
      - .offset:         96
        .size:           8
        .value_kind:     hidden_global_offset_y
      - .offset:         104
        .size:           8
        .value_kind:     hidden_global_offset_z
      - .offset:         112
        .size:           2
        .value_kind:     hidden_grid_dims
    .group_segment_fixed_size: 0
    .kernarg_segment_align: 8
    .kernarg_segment_size: 304
    .language:       OpenCL C
    .language_version:
      - 2
      - 0
    .max_flat_workgroup_size: 1024
    .name:           _ZN2at6native12_GLOBAL__N_124adaptiveaveragegradinputIffEEvPT_PKS3_iiiiiil
    .private_segment_fixed_size: 0
    .sgpr_count:     68
    .sgpr_spill_count: 0
    .symbol:         _ZN2at6native12_GLOBAL__N_124adaptiveaveragegradinputIffEEvPT_PKS3_iiiiiil.kd
    .uniform_work_group_size: 1
    .uses_dynamic_stack: false
    .vgpr_count:     44
    .vgpr_spill_count: 0
    .wavefront_size: 64
  - .agpr_count:     0
    .args:
      - .address_space:  global
        .offset:         0
        .size:           8
        .value_kind:     global_buffer
      - .address_space:  global
        .offset:         8
        .size:           8
        .value_kind:     global_buffer
      - .offset:         16
        .size:           4
        .value_kind:     by_value
      - .offset:         20
        .size:           4
        .value_kind:     by_value
      - .offset:         24
        .size:           4
        .value_kind:     by_value
      - .offset:         28
        .size:           4
        .value_kind:     by_value
      - .offset:         32
        .size:           4
        .value_kind:     by_value
      - .offset:         36
        .size:           4
        .value_kind:     by_value
      - .offset:         40
        .size:           8
        .value_kind:     by_value
      - .offset:         48
        .size:           4
        .value_kind:     hidden_block_count_x
      - .offset:         52
        .size:           4
        .value_kind:     hidden_block_count_y
      - .offset:         56
        .size:           4
        .value_kind:     hidden_block_count_z
      - .offset:         60
        .size:           2
        .value_kind:     hidden_group_size_x
      - .offset:         62
        .size:           2
        .value_kind:     hidden_group_size_y
      - .offset:         64
        .size:           2
        .value_kind:     hidden_group_size_z
      - .offset:         66
        .size:           2
        .value_kind:     hidden_remainder_x
      - .offset:         68
        .size:           2
        .value_kind:     hidden_remainder_y
      - .offset:         70
        .size:           2
        .value_kind:     hidden_remainder_z
      - .offset:         88
        .size:           8
        .value_kind:     hidden_global_offset_x
      - .offset:         96
        .size:           8
        .value_kind:     hidden_global_offset_y
      - .offset:         104
        .size:           8
        .value_kind:     hidden_global_offset_z
      - .offset:         112
        .size:           2
        .value_kind:     hidden_grid_dims
    .group_segment_fixed_size: 0
    .kernarg_segment_align: 8
    .kernarg_segment_size: 304
    .language:       OpenCL C
    .language_version:
      - 2
      - 0
    .max_flat_workgroup_size: 1024
    .name:           _ZN2at6native12_GLOBAL__N_124adaptiveaveragegradinputIN3c104HalfEfEEvPT_PKS5_iiiiiil
    .private_segment_fixed_size: 0
    .sgpr_count:     68
    .sgpr_spill_count: 0
    .symbol:         _ZN2at6native12_GLOBAL__N_124adaptiveaveragegradinputIN3c104HalfEfEEvPT_PKS5_iiiiiil.kd
    .uniform_work_group_size: 1
    .uses_dynamic_stack: false
    .vgpr_count:     44
    .vgpr_spill_count: 0
    .wavefront_size: 64
  - .agpr_count:     0
    .args:
      - .address_space:  global
        .offset:         0
        .size:           8
        .value_kind:     global_buffer
      - .address_space:  global
        .offset:         8
        .size:           8
        .value_kind:     global_buffer
      - .offset:         16
        .size:           4
        .value_kind:     by_value
      - .offset:         20
        .size:           4
        .value_kind:     by_value
      - .offset:         24
        .size:           4
        .value_kind:     by_value
      - .offset:         28
        .size:           4
        .value_kind:     by_value
      - .offset:         32
        .size:           4
        .value_kind:     by_value
      - .offset:         36
        .size:           4
        .value_kind:     by_value
      - .offset:         40
        .size:           8
        .value_kind:     by_value
      - .offset:         48
        .size:           4
        .value_kind:     hidden_block_count_x
      - .offset:         52
        .size:           4
        .value_kind:     hidden_block_count_y
      - .offset:         56
        .size:           4
        .value_kind:     hidden_block_count_z
      - .offset:         60
        .size:           2
        .value_kind:     hidden_group_size_x
      - .offset:         62
        .size:           2
        .value_kind:     hidden_group_size_y
      - .offset:         64
        .size:           2
        .value_kind:     hidden_group_size_z
      - .offset:         66
        .size:           2
        .value_kind:     hidden_remainder_x
      - .offset:         68
        .size:           2
        .value_kind:     hidden_remainder_y
      - .offset:         70
        .size:           2
        .value_kind:     hidden_remainder_z
      - .offset:         88
        .size:           8
        .value_kind:     hidden_global_offset_x
      - .offset:         96
        .size:           8
        .value_kind:     hidden_global_offset_y
      - .offset:         104
        .size:           8
        .value_kind:     hidden_global_offset_z
      - .offset:         112
        .size:           2
        .value_kind:     hidden_grid_dims
    .group_segment_fixed_size: 0
    .kernarg_segment_align: 8
    .kernarg_segment_size: 304
    .language:       OpenCL C
    .language_version:
      - 2
      - 0
    .max_flat_workgroup_size: 1024
    .name:           _ZN2at6native12_GLOBAL__N_124adaptiveaveragegradinputIN3c108BFloat16EfEEvPT_PKS5_iiiiiil
    .private_segment_fixed_size: 0
    .sgpr_count:     69
    .sgpr_spill_count: 0
    .symbol:         _ZN2at6native12_GLOBAL__N_124adaptiveaveragegradinputIN3c108BFloat16EfEEvPT_PKS5_iiiiiil.kd
    .uniform_work_group_size: 1
    .uses_dynamic_stack: false
    .vgpr_count:     46
    .vgpr_spill_count: 0
    .wavefront_size: 64
amdhsa.target:   amdgcn-amd-amdhsa--gfx90a
amdhsa.version:
  - 1
  - 2
...

	.end_amdgpu_metadata
